;; amdgpu-corpus repo=zjin-lcf/HeCBench kind=compiled arch=gfx906 opt=O3
	.amdgcn_target "amdgcn-amd-amdhsa--gfx906"
	.amdhsa_code_object_version 6
	.section	.text._Z15resize_bilinearIhLm8EEvPT_miiPKS0_iiffb,"axG",@progbits,_Z15resize_bilinearIhLm8EEvPT_miiPKS0_iiffb,comdat
	.protected	_Z15resize_bilinearIhLm8EEvPT_miiPKS0_iiffb ; -- Begin function _Z15resize_bilinearIhLm8EEvPT_miiPKS0_iiffb
	.globl	_Z15resize_bilinearIhLm8EEvPT_miiPKS0_iiffb
	.p2align	8
	.type	_Z15resize_bilinearIhLm8EEvPT_miiPKS0_iiffb,@function
_Z15resize_bilinearIhLm8EEvPT_miiPKS0_iiffb: ; @_Z15resize_bilinearIhLm8EEvPT_miiPKS0_iiffb
; %bb.0:
	s_load_dwordx4 s[0:3], s[4:5], 0x8
	s_waitcnt lgkmcnt(0)
	s_mul_i32 s12, s3, s2
	s_ashr_i32 s13, s12, 31
	s_or_b64 s[8:9], s[0:1], s[12:13]
	s_mov_b32 s8, 0
	s_cmp_lg_u64 s[8:9], 0
	s_cbranch_scc0 .LBB0_18
; %bb.1:
	v_cvt_f32_u32_e32 v1, s12
	v_cvt_f32_u32_e32 v2, s13
	s_sub_u32 s7, 0, s12
	s_subb_u32 s14, 0, s13
	v_madmk_f32 v1, v2, 0x4f800000, v1
	v_rcp_f32_e32 v1, v1
	v_mul_f32_e32 v1, 0x5f7ffffc, v1
	v_mul_f32_e32 v2, 0x2f800000, v1
	v_trunc_f32_e32 v2, v2
	v_madmk_f32 v1, v2, 0xcf800000, v1
	v_cvt_u32_f32_e32 v2, v2
	v_cvt_u32_f32_e32 v1, v1
	v_readfirstlane_b32 s15, v2
	v_readfirstlane_b32 s10, v1
	s_mul_i32 s11, s7, s15
	s_mul_hi_u32 s17, s7, s10
	s_mul_i32 s16, s14, s10
	s_add_i32 s11, s17, s11
	s_add_i32 s11, s11, s16
	s_mul_i32 s18, s7, s10
	s_mul_i32 s17, s10, s11
	s_mul_hi_u32 s19, s10, s18
	s_mul_hi_u32 s16, s10, s11
	s_add_u32 s17, s19, s17
	s_addc_u32 s16, 0, s16
	s_mul_hi_u32 s20, s15, s18
	s_mul_i32 s18, s15, s18
	s_add_u32 s17, s17, s18
	s_mul_hi_u32 s19, s15, s11
	s_addc_u32 s16, s16, s20
	s_addc_u32 s17, s19, 0
	s_mul_i32 s11, s15, s11
	s_add_u32 s11, s16, s11
	s_addc_u32 s16, 0, s17
	s_add_u32 s17, s10, s11
	s_cselect_b64 s[10:11], -1, 0
	s_cmp_lg_u64 s[10:11], 0
	s_addc_u32 s15, s15, s16
	s_mul_i32 s10, s7, s15
	s_mul_hi_u32 s11, s7, s17
	s_add_i32 s10, s11, s10
	s_mul_i32 s14, s14, s17
	s_add_i32 s10, s10, s14
	s_mul_i32 s7, s7, s17
	s_mul_hi_u32 s14, s15, s7
	s_mul_i32 s16, s15, s7
	s_mul_i32 s19, s17, s10
	s_mul_hi_u32 s7, s17, s7
	s_mul_hi_u32 s18, s17, s10
	s_add_u32 s7, s7, s19
	s_addc_u32 s18, 0, s18
	s_add_u32 s7, s7, s16
	s_mul_hi_u32 s11, s15, s10
	s_addc_u32 s7, s18, s14
	s_addc_u32 s11, s11, 0
	s_mul_i32 s10, s15, s10
	s_add_u32 s7, s7, s10
	s_addc_u32 s14, 0, s11
	s_add_u32 s7, s17, s7
	s_cselect_b64 s[10:11], -1, 0
	s_cmp_lg_u64 s[10:11], 0
	s_addc_u32 s10, s15, s14
	s_mul_i32 s14, s0, s10
	s_mul_hi_u32 s15, s0, s7
	s_mul_hi_u32 s11, s0, s10
	s_add_u32 s14, s15, s14
	s_addc_u32 s11, 0, s11
	s_mul_hi_u32 s16, s1, s7
	s_mul_i32 s7, s1, s7
	s_add_u32 s7, s14, s7
	s_mul_hi_u32 s15, s1, s10
	s_addc_u32 s7, s11, s16
	s_addc_u32 s11, s15, 0
	s_mul_i32 s10, s1, s10
	s_add_u32 s7, s7, s10
	s_addc_u32 s16, 0, s11
	s_mul_i32 s10, s12, s16
	s_mul_hi_u32 s11, s12, s7
	s_add_i32 s10, s11, s10
	s_mul_i32 s11, s13, s7
	s_add_i32 s17, s10, s11
	s_sub_i32 s14, s1, s17
	s_mul_i32 s10, s12, s7
	s_sub_u32 s18, s0, s10
	s_cselect_b64 s[10:11], -1, 0
	s_cmp_lg_u64 s[10:11], 0
	s_subb_u32 s19, s14, s13
	s_sub_u32 s20, s18, s12
	s_cselect_b64 s[14:15], -1, 0
	s_cmp_lg_u64 s[14:15], 0
	s_subb_u32 s14, s19, 0
	s_cmp_ge_u32 s14, s13
	s_cselect_b32 s15, -1, 0
	s_cmp_ge_u32 s20, s12
	s_cselect_b32 s19, -1, 0
	s_cmp_eq_u32 s14, s13
	s_cselect_b32 s14, s19, s15
	s_add_u32 s15, s7, 1
	s_addc_u32 s19, s16, 0
	s_add_u32 s20, s7, 2
	s_addc_u32 s21, s16, 0
	s_cmp_lg_u32 s14, 0
	s_cselect_b32 s14, s20, s15
	s_cselect_b32 s15, s21, s19
	s_cmp_lg_u64 s[10:11], 0
	s_subb_u32 s1, s1, s17
	s_cmp_ge_u32 s1, s13
	s_cselect_b32 s10, -1, 0
	s_cmp_ge_u32 s18, s12
	s_cselect_b32 s11, -1, 0
	s_cmp_eq_u32 s1, s13
	s_cselect_b32 s1, s11, s10
	s_cmp_lg_u32 s1, 0
	s_cselect_b32 s11, s15, s16
	s_cselect_b32 s10, s14, s7
	s_cbranch_execnz .LBB0_3
.LBB0_2:
	v_cvt_f32_u32_e32 v1, s12
	s_sub_i32 s1, 0, s12
	s_mov_b32 s11, 0
	v_rcp_iflag_f32_e32 v1, v1
	v_mul_f32_e32 v1, 0x4f7ffffe, v1
	v_cvt_u32_f32_e32 v1, v1
	v_readfirstlane_b32 s7, v1
	s_mul_i32 s1, s1, s7
	s_mul_hi_u32 s1, s7, s1
	s_add_i32 s7, s7, s1
	s_mul_hi_u32 s1, s0, s7
	s_mul_i32 s8, s1, s12
	s_sub_i32 s0, s0, s8
	s_add_i32 s7, s1, 1
	s_sub_i32 s8, s0, s12
	s_cmp_ge_u32 s0, s12
	s_cselect_b32 s1, s7, s1
	s_cselect_b32 s0, s8, s0
	s_add_i32 s7, s1, 1
	s_cmp_ge_u32 s0, s12
	s_cselect_b32 s10, s7, s1
.LBB0_3:
	s_lshr_b64 s[0:1], s[10:11], 3
	s_mul_i32 s1, s0, s13
	s_mul_hi_u32 s7, s0, s12
	s_load_dword s8, s[4:5], 0x44
	s_add_i32 s1, s7, s1
	s_lshr_b32 s7, s11, 3
	s_mul_i32 s7, s7, s12
	s_add_i32 s15, s1, s7
	s_mul_i32 s14, s0, s12
	s_add_u32 s0, s4, 56
	s_addc_u32 s1, s5, 0
	s_waitcnt lgkmcnt(0)
	s_and_b32 s19, s8, 0xffff
	s_mul_i32 s6, s6, s19
	v_add_u32_e32 v0, s6, v0
	v_ashrrev_i32_e32 v1, 31, v0
	v_cmp_gt_u64_e32 vcc, s[14:15], v[0:1]
	s_and_saveexec_b64 s[6:7], vcc
	s_cbranch_execz .LBB0_17
; %bb.4:
	s_load_dword s18, s[4:5], 0x30
	s_load_dwordx4 s[8:11], s[4:5], 0x20
	s_load_dwordx2 s[6:7], s[4:5], 0x0
	s_load_dwordx2 s[16:17], s[4:5], 0x18
	s_load_dword s29, s[0:1], 0x0
	s_waitcnt lgkmcnt(0)
	s_bitcmp1_b32 s18, 0
	s_cselect_b64 s[4:5], -1, 0
	s_abs_i32 s26, s12
	v_cvt_f32_u32_e32 v1, s26
	s_abs_i32 s27, s3
	v_cvt_f32_u32_e32 v2, s27
	s_sub_i32 s0, 0, s26
	v_rcp_iflag_f32_e32 v1, v1
	s_mul_i32 s28, s9, s8
	v_rcp_iflag_f32_e32 v2, v2
	s_add_i32 s18, s9, -1
	v_mul_f32_e32 v1, 0x4f7ffffe, v1
	v_cvt_u32_f32_e32 v1, v1
	v_mul_f32_e32 v2, 0x4f7ffffe, v2
	v_cvt_u32_f32_e32 v2, v2
	s_xor_b64 s[4:5], s[4:5], -1
	v_mul_lo_u32 v3, s0, v1
	s_sub_i32 s0, 0, s27
	v_mul_lo_u32 v4, s0, v2
	s_add_i32 s8, s8, -1
	v_mul_hi_u32 v3, v1, v3
	s_mul_i32 s29, s29, s19
	v_mul_hi_u32 v4, v2, v4
	s_ashr_i32 s30, s12, 31
	v_add_u32_e32 v3, v1, v3
	s_ashr_i32 s31, s3, 31
	v_add_u32_e32 v4, v2, v4
	s_ashr_i32 s33, s28, 31
	s_ashr_i32 s19, s18, 31
	s_mov_b64 s[20:21], 0
	s_mov_b32 s34, 0x7ffffff8
	s_branch .LBB0_6
.LBB0_5:                                ;   in Loop: Header=BB0_6 Depth=1
	s_or_b64 exec, exec, s[22:23]
	v_add_u32_e32 v0, s29, v0
	v_ashrrev_i32_e32 v1, 31, v0
	v_cmp_le_u64_e32 vcc, s[14:15], v[0:1]
	s_or_b64 s[20:21], vcc, s[20:21]
	s_andn2_b64 exec, exec, s[20:21]
	s_cbranch_execz .LBB0_17
.LBB0_6:                                ; =>This Loop Header: Depth=1
                                        ;     Child Loop BB0_16 Depth 2
	v_sub_u32_e32 v1, 0, v0
	v_max_i32_e32 v2, v0, v1
	v_mul_hi_u32 v1, v2, v4
	v_ashrrev_i32_e32 v5, 31, v0
	s_mov_b64 s[0:1], -1
                                        ; implicit-def: $vgpr9
	v_mul_lo_u32 v1, v1, s27
	v_sub_u32_e32 v1, v2, v1
	v_subrev_u32_e32 v6, s27, v1
	v_cmp_le_u32_e32 vcc, s27, v1
	v_cndmask_b32_e32 v1, v1, v6, vcc
	v_subrev_u32_e32 v6, s27, v1
	v_cmp_le_u32_e32 vcc, s27, v1
	v_cndmask_b32_e32 v1, v1, v6, vcc
	v_xor_b32_e32 v1, v1, v5
	v_sub_u32_e32 v6, v1, v5
	v_cvt_f32_i32_e32 v6, v6
	s_and_b64 vcc, exec, s[4:5]
	s_cbranch_vccz .LBB0_8
; %bb.7:                                ;   in Loop: Header=BB0_6 Depth=1
	v_mul_f32_e32 v9, s11, v6
	s_mov_b64 s[0:1], 0
.LBB0_8:                                ;   in Loop: Header=BB0_6 Depth=1
	s_andn2_b64 vcc, exec, s[0:1]
	s_cbranch_vccnz .LBB0_10
; %bb.9:                                ;   in Loop: Header=BB0_6 Depth=1
	v_add_f32_e32 v6, 0.5, v6
	v_fma_f32 v6, s11, v6, -0.5
	v_max_f32_e32 v9, 0, v6
.LBB0_10:                               ;   in Loop: Header=BB0_6 Depth=1
	v_mul_hi_u32 v6, v2, v3
	v_xor_b32_e32 v8, s30, v5
	s_mov_b64 s[0:1], -1
	v_mul_lo_u32 v7, v6, s26
	v_add_u32_e32 v10, 1, v6
	v_sub_u32_e32 v2, v2, v7
	v_cmp_le_u32_e32 vcc, s26, v2
	v_subrev_u32_e32 v7, s26, v2
	v_cndmask_b32_e32 v6, v6, v10, vcc
	v_cndmask_b32_e32 v2, v2, v7, vcc
	v_add_u32_e32 v7, 1, v6
	v_cmp_le_u32_e32 vcc, s26, v2
	v_cndmask_b32_e32 v2, v6, v7, vcc
	v_xor_b32_e32 v2, v2, v8
	v_sub_u32_e32 v6, v2, v8
	v_mul_lo_u32 v2, v6, s12
	v_sub_u32_e32 v2, v0, v2
	v_sub_u32_e32 v7, 0, v2
	v_max_i32_e32 v7, v2, v7
	v_mul_hi_u32 v8, v7, v4
	v_ashrrev_i32_e32 v2, 31, v2
	v_xor_b32_e32 v14, s31, v2
	v_mul_lo_u32 v10, v8, s27
	v_add_u32_e32 v2, 1, v8
	v_sub_u32_e32 v7, v7, v10
	v_cmp_le_u32_e32 vcc, s27, v7
	v_cndmask_b32_e32 v2, v8, v2, vcc
	v_subrev_u32_e32 v8, s27, v7
	v_cndmask_b32_e32 v7, v7, v8, vcc
	v_add_u32_e32 v8, 1, v2
	v_cmp_le_u32_e32 vcc, s27, v7
	v_cndmask_b32_e32 v2, v2, v8, vcc
	v_xor_b32_e32 v2, v2, v14
	v_sub_u32_e32 v7, v2, v14
	v_cvt_f32_i32_e32 v7, v7
	s_and_b64 vcc, exec, s[4:5]
                                        ; implicit-def: $vgpr8
	s_cbranch_vccnz .LBB0_13
; %bb.11:                               ;   in Loop: Header=BB0_6 Depth=1
	s_andn2_b64 vcc, exec, s[0:1]
	s_cbranch_vccz .LBB0_14
.LBB0_12:                               ;   in Loop: Header=BB0_6 Depth=1
	v_lshlrev_b32_e32 v6, 3, v6
	v_cmp_ne_u32_e32 vcc, s34, v6
	s_and_saveexec_b64 s[22:23], vcc
	s_cbranch_execz .LBB0_5
	s_branch .LBB0_15
.LBB0_13:                               ;   in Loop: Header=BB0_6 Depth=1
	v_mul_f32_e32 v8, s10, v7
	s_cbranch_execnz .LBB0_12
.LBB0_14:                               ;   in Loop: Header=BB0_6 Depth=1
	v_add_f32_e32 v7, 0.5, v7
	v_fma_f32 v7, s10, v7, -0.5
	v_max_f32_e32 v8, 0, v7
	v_lshlrev_b32_e32 v6, 3, v6
	v_cmp_ne_u32_e32 vcc, s34, v6
	s_and_saveexec_b64 s[22:23], vcc
	s_cbranch_execz .LBB0_5
.LBB0_15:                               ;   in Loop: Header=BB0_6 Depth=1
	v_cvt_i32_f32_e32 v12, v8
	v_cvt_i32_f32_e32 v15, v9
	v_mul_lo_u32 v10, v6, s28
	v_add_u32_e32 v7, 8, v6
	v_add_u32_e32 v13, 1, v12
	;; [unrolled: 1-line block ×3, first 2 shown]
	v_min_i32_e32 v13, s8, v13
	v_mad_u64_u32 v[16:17], s[0:1], v13, s9, v[10:11]
	v_min_i32_e32 v13, s8, v12
	v_cvt_f32_i32_e32 v12, v12
	v_cvt_f32_i32_e32 v19, v15
	v_mad_u64_u32 v[17:18], s[0:1], v13, s9, v[10:11]
	v_sub_f32_e32 v8, v8, v12
	v_ashrrev_i32_e32 v12, 31, v11
	v_sub_f32_e32 v9, v9, v19
	v_cmp_lt_i64_e32 vcc, s[18:19], v[11:12]
	v_mad_u64_u32 v[18:19], s[0:1], s2, v6, v[2:3]
	v_mov_b32_e32 v10, s19
	v_cndmask_b32_e32 v21, v12, v10, vcc
	v_mov_b32_e32 v10, s18
	v_cndmask_b32_e32 v22, v11, v10, vcc
	v_ashrrev_i32_e32 v20, 31, v15
	v_ashrrev_i32_e32 v13, 31, v17
	v_add_co_u32_e32 v10, vcc, v22, v17
	v_add_co_u32_e64 v11, s[0:1], v15, v17
	v_sub_u32_e32 v2, v18, v14
	v_addc_co_u32_e64 v12, s[0:1], v20, v13, s[0:1]
	v_addc_co_u32_e32 v13, vcc, v21, v13, vcc
	v_mad_u64_u32 v[1:2], s[0:1], s3, v2, v[1:2]
	v_ashrrev_i32_e32 v17, 31, v16
	v_add_co_u32_e32 v14, vcc, v15, v16
	v_addc_co_u32_e32 v15, vcc, v20, v17, vcc
	v_cvt_i32_f32_e32 v8, v8
	v_cvt_i32_f32_e32 v9, v9
	v_add_co_u32_e32 v16, vcc, v22, v16
	v_addc_co_u32_e32 v17, vcc, v21, v17, vcc
	v_sub_u32_e32 v1, v1, v5
	v_ashrrev_i32_e32 v2, 31, v1
	v_mov_b32_e32 v5, s7
	v_add_co_u32_e32 v1, vcc, s6, v1
	v_addc_co_u32_e32 v2, vcc, v5, v2, vcc
	s_mov_b64 s[0:1], 0
	s_mov_b64 s[24:25], s[16:17]
.LBB0_16:                               ;   Parent Loop BB0_6 Depth=1
                                        ; =>  This Inner Loop Header: Depth=2
	v_add_co_u32_e32 v18, vcc, s24, v11
	v_mov_b32_e32 v5, s25
	v_addc_co_u32_e32 v19, vcc, v5, v12, vcc
	global_load_ubyte v20, v[18:19], off
	v_add_co_u32_e32 v18, vcc, s24, v10
	v_addc_co_u32_e32 v19, vcc, v5, v13, vcc
	global_load_ubyte v21, v[18:19], off
	v_add_co_u32_e32 v18, vcc, s24, v14
	;; [unrolled: 3-line block ×3, first 2 shown]
	v_addc_co_u32_e32 v19, vcc, v5, v17, vcc
	global_load_ubyte v5, v[18:19], off
	v_add_u32_e32 v6, 1, v6
	s_add_u32 s24, s24, s28
	s_addc_u32 s25, s25, s33
	s_waitcnt vmcnt(2)
	v_sub_u16_e32 v19, v21, v20
	s_waitcnt vmcnt(1)
	v_add_u16_e32 v21, v21, v22
	v_sub_u16_e32 v21, v20, v21
	v_sub_u16_e32 v18, v22, v20
	s_waitcnt vmcnt(0)
	v_add_u16_e32 v5, v21, v5
	v_mad_legacy_u16 v5, v5, v9, v18
	v_mad_legacy_u16 v18, v19, v9, v20
	;; [unrolled: 1-line block ×3, first 2 shown]
	global_store_byte v[1:2], v5, off
	v_add_co_u32_e32 v1, vcc, s12, v1
	v_mov_b32_e32 v5, s13
	v_addc_co_u32_e32 v2, vcc, v2, v5, vcc
	v_cmp_ge_i32_e32 vcc, v6, v7
	s_or_b64 s[0:1], vcc, s[0:1]
	s_andn2_b64 exec, exec, s[0:1]
	s_cbranch_execnz .LBB0_16
	s_branch .LBB0_5
.LBB0_17:
	s_endpgm
.LBB0_18:
                                        ; implicit-def: $sgpr10_sgpr11
	s_branch .LBB0_2
	.section	.rodata,"a",@progbits
	.p2align	6, 0x0
	.amdhsa_kernel _Z15resize_bilinearIhLm8EEvPT_miiPKS0_iiffb
		.amdhsa_group_segment_fixed_size 0
		.amdhsa_private_segment_fixed_size 0
		.amdhsa_kernarg_size 312
		.amdhsa_user_sgpr_count 6
		.amdhsa_user_sgpr_private_segment_buffer 1
		.amdhsa_user_sgpr_dispatch_ptr 0
		.amdhsa_user_sgpr_queue_ptr 0
		.amdhsa_user_sgpr_kernarg_segment_ptr 1
		.amdhsa_user_sgpr_dispatch_id 0
		.amdhsa_user_sgpr_flat_scratch_init 0
		.amdhsa_user_sgpr_private_segment_size 0
		.amdhsa_uses_dynamic_stack 0
		.amdhsa_system_sgpr_private_segment_wavefront_offset 0
		.amdhsa_system_sgpr_workgroup_id_x 1
		.amdhsa_system_sgpr_workgroup_id_y 0
		.amdhsa_system_sgpr_workgroup_id_z 0
		.amdhsa_system_sgpr_workgroup_info 0
		.amdhsa_system_vgpr_workitem_id 0
		.amdhsa_next_free_vgpr 23
		.amdhsa_next_free_sgpr 35
		.amdhsa_reserve_vcc 1
		.amdhsa_reserve_flat_scratch 0
		.amdhsa_float_round_mode_32 0
		.amdhsa_float_round_mode_16_64 0
		.amdhsa_float_denorm_mode_32 3
		.amdhsa_float_denorm_mode_16_64 3
		.amdhsa_dx10_clamp 1
		.amdhsa_ieee_mode 1
		.amdhsa_fp16_overflow 0
		.amdhsa_exception_fp_ieee_invalid_op 0
		.amdhsa_exception_fp_denorm_src 0
		.amdhsa_exception_fp_ieee_div_zero 0
		.amdhsa_exception_fp_ieee_overflow 0
		.amdhsa_exception_fp_ieee_underflow 0
		.amdhsa_exception_fp_ieee_inexact 0
		.amdhsa_exception_int_div_zero 0
	.end_amdhsa_kernel
	.section	.text._Z15resize_bilinearIhLm8EEvPT_miiPKS0_iiffb,"axG",@progbits,_Z15resize_bilinearIhLm8EEvPT_miiPKS0_iiffb,comdat
.Lfunc_end0:
	.size	_Z15resize_bilinearIhLm8EEvPT_miiPKS0_iiffb, .Lfunc_end0-_Z15resize_bilinearIhLm8EEvPT_miiPKS0_iiffb
                                        ; -- End function
	.set _Z15resize_bilinearIhLm8EEvPT_miiPKS0_iiffb.num_vgpr, 23
	.set _Z15resize_bilinearIhLm8EEvPT_miiPKS0_iiffb.num_agpr, 0
	.set _Z15resize_bilinearIhLm8EEvPT_miiPKS0_iiffb.numbered_sgpr, 35
	.set _Z15resize_bilinearIhLm8EEvPT_miiPKS0_iiffb.num_named_barrier, 0
	.set _Z15resize_bilinearIhLm8EEvPT_miiPKS0_iiffb.private_seg_size, 0
	.set _Z15resize_bilinearIhLm8EEvPT_miiPKS0_iiffb.uses_vcc, 1
	.set _Z15resize_bilinearIhLm8EEvPT_miiPKS0_iiffb.uses_flat_scratch, 0
	.set _Z15resize_bilinearIhLm8EEvPT_miiPKS0_iiffb.has_dyn_sized_stack, 0
	.set _Z15resize_bilinearIhLm8EEvPT_miiPKS0_iiffb.has_recursion, 0
	.set _Z15resize_bilinearIhLm8EEvPT_miiPKS0_iiffb.has_indirect_call, 0
	.section	.AMDGPU.csdata,"",@progbits
; Kernel info:
; codeLenInByte = 1656
; TotalNumSgprs: 39
; NumVgprs: 23
; ScratchSize: 0
; MemoryBound: 0
; FloatMode: 240
; IeeeMode: 1
; LDSByteSize: 0 bytes/workgroup (compile time only)
; SGPRBlocks: 4
; VGPRBlocks: 5
; NumSGPRsForWavesPerEU: 39
; NumVGPRsForWavesPerEU: 23
; Occupancy: 10
; WaveLimiterHint : 0
; COMPUTE_PGM_RSRC2:SCRATCH_EN: 0
; COMPUTE_PGM_RSRC2:USER_SGPR: 6
; COMPUTE_PGM_RSRC2:TRAP_HANDLER: 0
; COMPUTE_PGM_RSRC2:TGID_X_EN: 1
; COMPUTE_PGM_RSRC2:TGID_Y_EN: 0
; COMPUTE_PGM_RSRC2:TGID_Z_EN: 0
; COMPUTE_PGM_RSRC2:TIDIG_COMP_CNT: 0
	.section	.text._Z6resizeIhLm8EEvPT_miiPKS0_iiffbb,"axG",@progbits,_Z6resizeIhLm8EEvPT_miiPKS0_iiffbb,comdat
	.protected	_Z6resizeIhLm8EEvPT_miiPKS0_iiffbb ; -- Begin function _Z6resizeIhLm8EEvPT_miiPKS0_iiffbb
	.globl	_Z6resizeIhLm8EEvPT_miiPKS0_iiffbb
	.p2align	8
	.type	_Z6resizeIhLm8EEvPT_miiPKS0_iiffbb,@function
_Z6resizeIhLm8EEvPT_miiPKS0_iiffbb:     ; @_Z6resizeIhLm8EEvPT_miiPKS0_iiffbb
; %bb.0:
	s_load_dwordx4 s[8:11], s[4:5], 0x8
	s_waitcnt lgkmcnt(0)
	s_mul_i32 s16, s11, s10
	s_ashr_i32 s17, s16, 31
	s_or_b64 s[0:1], s[8:9], s[16:17]
	s_mov_b32 s0, 0
	s_cmp_lg_u64 s[0:1], 0
	s_cbranch_scc0 .LBB1_15
; %bb.1:
	v_cvt_f32_u32_e32 v1, s16
	v_cvt_f32_u32_e32 v2, s17
	s_sub_u32 s7, 0, s16
	s_subb_u32 s10, 0, s17
	v_madmk_f32 v1, v2, 0x4f800000, v1
	v_rcp_f32_e32 v1, v1
	v_mul_f32_e32 v1, 0x5f7ffffc, v1
	v_mul_f32_e32 v2, 0x2f800000, v1
	v_trunc_f32_e32 v2, v2
	v_madmk_f32 v1, v2, 0xcf800000, v1
	v_cvt_u32_f32_e32 v2, v2
	v_cvt_u32_f32_e32 v1, v1
	v_readfirstlane_b32 s12, v2
	v_readfirstlane_b32 s2, v1
	s_mul_i32 s3, s7, s12
	s_mul_hi_u32 s14, s7, s2
	s_mul_i32 s13, s10, s2
	s_add_i32 s3, s14, s3
	s_add_i32 s3, s3, s13
	s_mul_i32 s15, s7, s2
	s_mul_i32 s14, s2, s3
	s_mul_hi_u32 s18, s2, s15
	s_mul_hi_u32 s13, s2, s3
	s_add_u32 s14, s18, s14
	s_addc_u32 s13, 0, s13
	s_mul_hi_u32 s19, s12, s15
	s_mul_i32 s15, s12, s15
	s_add_u32 s14, s14, s15
	s_mul_hi_u32 s18, s12, s3
	s_addc_u32 s13, s13, s19
	s_addc_u32 s14, s18, 0
	s_mul_i32 s3, s12, s3
	s_add_u32 s3, s13, s3
	s_addc_u32 s13, 0, s14
	s_add_u32 s14, s2, s3
	s_cselect_b64 s[2:3], -1, 0
	s_cmp_lg_u64 s[2:3], 0
	s_addc_u32 s12, s12, s13
	s_mul_i32 s2, s7, s12
	s_mul_hi_u32 s3, s7, s14
	s_add_i32 s2, s3, s2
	s_mul_i32 s10, s10, s14
	s_add_i32 s2, s2, s10
	s_mul_i32 s7, s7, s14
	s_mul_hi_u32 s10, s12, s7
	s_mul_i32 s13, s12, s7
	s_mul_i32 s18, s14, s2
	s_mul_hi_u32 s7, s14, s7
	s_mul_hi_u32 s15, s14, s2
	s_add_u32 s7, s7, s18
	s_addc_u32 s15, 0, s15
	s_add_u32 s7, s7, s13
	s_mul_hi_u32 s3, s12, s2
	s_addc_u32 s7, s15, s10
	s_addc_u32 s3, s3, 0
	s_mul_i32 s2, s12, s2
	s_add_u32 s2, s7, s2
	s_addc_u32 s7, 0, s3
	s_add_u32 s10, s14, s2
	s_cselect_b64 s[2:3], -1, 0
	s_cmp_lg_u64 s[2:3], 0
	s_addc_u32 s2, s12, s7
	s_mul_i32 s7, s8, s2
	s_mul_hi_u32 s12, s8, s10
	s_mul_hi_u32 s3, s8, s2
	s_add_u32 s7, s12, s7
	s_addc_u32 s3, 0, s3
	s_mul_hi_u32 s13, s9, s10
	s_mul_i32 s10, s9, s10
	s_add_u32 s7, s7, s10
	s_mul_hi_u32 s12, s9, s2
	s_addc_u32 s3, s3, s13
	s_addc_u32 s7, s12, 0
	s_mul_i32 s2, s9, s2
	s_add_u32 s10, s3, s2
	s_addc_u32 s7, 0, s7
	s_mul_i32 s2, s16, s7
	s_mul_hi_u32 s3, s16, s10
	s_add_i32 s2, s3, s2
	s_mul_i32 s3, s17, s10
	s_add_i32 s14, s2, s3
	s_sub_i32 s12, s9, s14
	s_mul_i32 s2, s16, s10
	s_sub_u32 s15, s8, s2
	s_cselect_b64 s[2:3], -1, 0
	s_cmp_lg_u64 s[2:3], 0
	s_subb_u32 s18, s12, s17
	s_sub_u32 s19, s15, s16
	s_cselect_b64 s[12:13], -1, 0
	s_cmp_lg_u64 s[12:13], 0
	s_subb_u32 s12, s18, 0
	s_cmp_ge_u32 s12, s17
	s_cselect_b32 s13, -1, 0
	s_cmp_ge_u32 s19, s16
	s_cselect_b32 s18, -1, 0
	s_cmp_eq_u32 s12, s17
	s_cselect_b32 s12, s18, s13
	s_add_u32 s13, s10, 1
	s_addc_u32 s18, s7, 0
	s_add_u32 s19, s10, 2
	s_addc_u32 s20, s7, 0
	s_cmp_lg_u32 s12, 0
	s_cselect_b32 s12, s19, s13
	s_cselect_b32 s13, s20, s18
	s_cmp_lg_u64 s[2:3], 0
	s_subb_u32 s2, s9, s14
	s_cmp_ge_u32 s2, s17
	s_cselect_b32 s3, -1, 0
	s_cmp_ge_u32 s15, s16
	s_cselect_b32 s9, -1, 0
	s_cmp_eq_u32 s2, s17
	s_cselect_b32 s2, s9, s3
	s_cmp_lg_u32 s2, 0
	s_cselect_b32 s3, s13, s7
	s_cselect_b32 s2, s12, s10
	s_cbranch_execnz .LBB1_3
.LBB1_2:
	v_cvt_f32_u32_e32 v1, s16
	s_sub_i32 s0, 0, s16
	s_mov_b32 s3, 0
	v_rcp_iflag_f32_e32 v1, v1
	v_mul_f32_e32 v1, 0x4f7ffffe, v1
	v_cvt_u32_f32_e32 v1, v1
	v_readfirstlane_b32 s1, v1
	s_mul_i32 s0, s0, s1
	s_mul_hi_u32 s0, s1, s0
	s_add_i32 s1, s1, s0
	s_mul_hi_u32 s0, s8, s1
	s_mul_i32 s2, s0, s16
	s_sub_i32 s2, s8, s2
	s_add_i32 s1, s0, 1
	s_sub_i32 s7, s2, s16
	s_cmp_ge_u32 s2, s16
	s_cselect_b32 s0, s1, s0
	s_cselect_b32 s2, s7, s2
	s_add_i32 s1, s0, 1
	s_cmp_ge_u32 s2, s16
	s_cselect_b32 s2, s1, s0
.LBB1_3:
	s_lshr_b64 s[0:1], s[2:3], 3
	s_mul_i32 s1, s0, s17
	s_mul_hi_u32 s2, s0, s16
	s_add_i32 s1, s2, s1
	s_lshr_b32 s2, s3, 3
	s_load_dword s3, s[4:5], 0x44
	s_mul_i32 s2, s2, s16
	s_add_i32 s9, s1, s2
	s_mul_i32 s8, s0, s16
	s_add_u32 s0, s4, 56
	s_addc_u32 s1, s5, 0
	s_waitcnt lgkmcnt(0)
	s_and_b32 s2, s3, 0xffff
	s_mul_i32 s6, s6, s2
	v_add_u32_e32 v0, s6, v0
	v_ashrrev_i32_e32 v1, 31, v0
	v_cmp_gt_u64_e32 vcc, s[8:9], v[0:1]
	s_and_saveexec_b64 s[6:7], vcc
	s_cbranch_execz .LBB1_14
; %bb.4:
	s_load_dword s3, s[4:5], 0x30
	s_load_dwordx4 s[12:15], s[4:5], 0x20
	s_load_dword s24, s[0:1], 0x0
	s_load_dwordx2 s[18:19], s[4:5], 0x0
	s_load_dwordx2 s[20:21], s[4:5], 0x18
	s_mov_b64 s[4:5], 0
	s_waitcnt lgkmcnt(0)
	s_bitcmp1_b32 s3, 0
	s_cselect_b64 s[0:1], -1, 0
	s_xor_b64 s[6:7], s[0:1], -1
	s_bitcmp1_b32 s3, 8
	s_cselect_b64 s[0:1], -1, 0
	s_abs_i32 s10, s16
	s_abs_i32 s22, s11
	v_cvt_f32_u32_e32 v1, s10
	v_cvt_f32_u32_e32 v2, s22
	s_mul_i32 s24, s24, s2
	s_sub_i32 s2, 0, s10
	v_rcp_iflag_f32_e32 v1, v1
	v_rcp_iflag_f32_e32 v2, v2
	s_mul_i32 s23, s13, s12
	s_add_i32 s25, s13, -1
	v_mul_f32_e32 v1, 0x4f7ffffe, v1
	v_cvt_u32_f32_e32 v1, v1
	v_mul_f32_e32 v2, 0x4f7ffffe, v2
	v_cvt_u32_f32_e32 v3, v2
	s_add_i32 s12, s12, -1
	v_mul_lo_u32 v2, s2, v1
	s_sub_i32 s2, 0, s22
	v_mul_lo_u32 v4, s2, v3
	s_ashr_i32 s26, s16, 31
	v_mul_hi_u32 v2, v1, v2
	s_ashr_i32 s27, s11, 31
	v_mul_hi_u32 v4, v3, v4
	s_ashr_i32 s28, s23, 31
	v_add_u32_e32 v2, v1, v2
	s_sub_i32 s29, 0, s16
	v_add_u32_e32 v3, v3, v4
	s_brev_b32 s30, -2
	s_mov_b32 s31, 0x2f800000
	s_mov_b32 s33, 0xcf800000
	s_branch .LBB1_6
.LBB1_5:                                ;   in Loop: Header=BB1_6 Depth=1
	v_lshlrev_b32_e32 v15, 3, v5
	v_min_i32_e32 v5, s12, v7
	v_mul_lo_u32 v7, v15, s23
	v_mul_lo_u32 v5, v5, s13
	v_min_i32_e32 v6, s25, v6
	v_mov_b32_e32 v16, s28
	v_add_u32_e32 v0, s24, v0
	v_add3_u32 v5, v5, v7, v6
	v_ashrrev_i32_e32 v6, 31, v5
	v_mov_b32_e32 v7, s21
	v_add_co_u32_e32 v5, vcc, s20, v5
	v_addc_co_u32_e32 v6, vcc, v7, v6, vcc
	v_add_co_u32_e32 v7, vcc, s23, v5
	v_addc_co_u32_e32 v8, vcc, v6, v16, vcc
	global_load_ubyte v17, v[5:6], off
	global_load_ubyte v18, v[7:8], off
	v_add_co_u32_e32 v5, vcc, s23, v7
	v_addc_co_u32_e32 v6, vcc, v8, v16, vcc
	v_add_co_u32_e32 v7, vcc, s23, v5
	v_addc_co_u32_e32 v8, vcc, v6, v16, vcc
	;; [unrolled: 2-line block ×5, first 2 shown]
	global_load_ubyte v19, v[5:6], off
	global_load_ubyte v20, v[7:8], off
	;; [unrolled: 1-line block ×5, first 2 shown]
	v_add_co_u32_e32 v5, vcc, s23, v13
	v_addc_co_u32_e32 v6, vcc, v14, v16, vcc
	global_load_ubyte v14, v[5:6], off
	v_mul_lo_u32 v5, v1, s11
	v_mul_lo_u32 v7, v15, s16
	v_ashrrev_i32_e32 v1, 31, v0
	v_cmp_le_u64_e32 vcc, s[8:9], v[0:1]
	v_mov_b32_e32 v6, s19
	v_add3_u32 v1, v5, v7, v4
	v_ashrrev_i32_e32 v5, 31, v1
	v_add_co_u32_e64 v4, s[2:3], s18, v1
	v_addc_co_u32_e64 v5, s[2:3], v6, v5, s[2:3]
	v_mov_b32_e32 v16, s17
	v_add_co_u32_e64 v6, s[2:3], s16, v4
	v_addc_co_u32_e64 v7, s[2:3], v5, v16, s[2:3]
	v_add_co_u32_e64 v8, s[2:3], s16, v6
	v_addc_co_u32_e64 v9, s[2:3], v7, v16, s[2:3]
	;; [unrolled: 2-line block ×3, first 2 shown]
	s_or_b64 s[4:5], vcc, s[4:5]
	s_waitcnt vmcnt(7)
	global_store_byte v[4:5], v17, off
	v_add_co_u32_e64 v4, s[2:3], s16, v10
	v_addc_co_u32_e64 v5, s[2:3], v11, v16, s[2:3]
	v_add_co_u32_e64 v12, s[2:3], s16, v4
	v_addc_co_u32_e64 v13, s[2:3], v5, v16, s[2:3]
	s_waitcnt vmcnt(7)
	global_store_byte v[6:7], v18, off
	v_add_co_u32_e64 v6, s[2:3], s16, v12
	v_addc_co_u32_e64 v7, s[2:3], v13, v16, s[2:3]
	s_waitcnt vmcnt(7)
	global_store_byte v[8:9], v19, off
	s_waitcnt vmcnt(7)
	global_store_byte v[10:11], v20, off
	;; [unrolled: 2-line block ×5, first 2 shown]
	v_add_co_u32_e64 v4, s[2:3], s16, v6
	v_addc_co_u32_e64 v5, s[2:3], v7, v16, s[2:3]
	s_waitcnt vmcnt(7)
	global_store_byte v[4:5], v14, off
	s_andn2_b64 exec, exec, s[4:5]
	s_cbranch_execz .LBB1_14
.LBB1_6:                                ; =>This Inner Loop Header: Depth=1
	v_sub_u32_e32 v1, 0, v0
	v_max_i32_e32 v6, v0, v1
	v_mul_hi_u32 v1, v6, v2
	v_ashrrev_i32_e32 v4, 31, v0
	v_xor_b32_e32 v7, s26, v4
	v_mul_lo_u32 v5, v1, s10
	v_add_u32_e32 v8, 1, v1
	v_sub_u32_e32 v5, v6, v5
	v_cmp_le_u32_e32 vcc, s10, v5
	v_cndmask_b32_e32 v1, v1, v8, vcc
	v_subrev_u32_e32 v8, s10, v5
	v_cndmask_b32_e32 v5, v5, v8, vcc
	v_add_u32_e32 v8, 1, v1
	v_cmp_le_u32_e32 vcc, s10, v5
	v_cndmask_b32_e32 v1, v1, v8, vcc
	v_xor_b32_e32 v1, v1, v7
	v_sub_u32_e32 v5, v1, v7
	v_mad_u64_u32 v[7:8], s[2:3], s29, v5, v[0:1]
	v_mul_lo_u32 v1, v5, s16
	s_mov_b64 s[2:3], -1
	v_ashrrev_i32_e32 v7, 31, v7
	v_sub_u32_e32 v1, v7, v1
	v_add_u32_e32 v1, v0, v1
	v_xor_b32_e32 v1, v1, v7
	v_mul_hi_u32 v8, v1, v3
	v_xor_b32_e32 v7, s27, v7
	v_mul_lo_u32 v9, v8, s22
	v_add_u32_e32 v10, 1, v8
	v_sub_u32_e32 v1, v1, v9
	v_cmp_le_u32_e32 vcc, s22, v1
	v_subrev_u32_e32 v9, s22, v1
	v_cndmask_b32_e32 v8, v8, v10, vcc
	v_cndmask_b32_e32 v1, v1, v9, vcc
	v_add_u32_e32 v9, 1, v8
	v_cmp_le_u32_e32 vcc, s22, v1
	v_cndmask_b32_e32 v1, v8, v9, vcc
	v_xor_b32_e32 v1, v1, v7
	v_sub_u32_e32 v1, v1, v7
	v_cvt_f32_i32_e32 v8, v1
	s_and_b64 vcc, exec, s[6:7]
                                        ; implicit-def: $vgpr7
	v_add_f32_e32 v9, 0.5, v8
	v_cndmask_b32_e64 v8, v8, v9, s[0:1]
	v_mul_f32_e32 v8, s14, v8
	s_cbranch_vccz .LBB1_8
; %bb.7:                                ;   in Loop: Header=BB1_6 Depth=1
	v_cvt_i32_f32_e32 v7, v8
	s_mov_b64 s[2:3], 0
.LBB1_8:                                ;   in Loop: Header=BB1_6 Depth=1
	s_andn2_b64 vcc, exec, s[2:3]
	s_cbranch_vccnz .LBB1_10
; %bb.9:                                ;   in Loop: Header=BB1_6 Depth=1
	v_trunc_f32_e32 v7, v8
	v_sub_f32_e32 v9, v8, v7
	v_cmp_ge_f32_e64 s[2:3], |v9|, 0.5
	v_cndmask_b32_e64 v9, 0, 1.0, s[2:3]
	v_bfi_b32 v8, s30, v9, v8
	v_add_f32_e32 v7, v7, v8
	v_trunc_f32_e32 v7, v7
	v_mul_f32_e64 v8, |v7|, s31
	v_floor_f32_e32 v8, v8
	v_fma_f32 v8, v8, s33, |v7|
	v_cvt_u32_f32_e32 v8, v8
	v_ashrrev_i32_e32 v7, 31, v7
	v_xor_b32_e32 v8, v8, v7
	v_sub_u32_e32 v7, v8, v7
.LBB1_10:                               ;   in Loop: Header=BB1_6 Depth=1
	v_mul_hi_u32 v8, v6, v3
	s_mov_b64 s[2:3], -1
	v_mul_lo_u32 v8, v8, s22
	v_sub_u32_e32 v6, v6, v8
	v_subrev_u32_e32 v8, s22, v6
	v_cmp_le_u32_e32 vcc, s22, v6
	v_cndmask_b32_e32 v6, v6, v8, vcc
	v_subrev_u32_e32 v8, s22, v6
	v_cmp_le_u32_e32 vcc, s22, v6
	v_cndmask_b32_e32 v6, v6, v8, vcc
	v_xor_b32_e32 v6, v6, v4
	v_sub_u32_e32 v4, v6, v4
	v_cvt_f32_i32_e32 v8, v4
	s_and_b64 vcc, exec, s[6:7]
                                        ; implicit-def: $vgpr6
	v_add_f32_e32 v9, 0.5, v8
	v_cndmask_b32_e64 v8, v8, v9, s[0:1]
	v_mul_f32_e32 v8, s15, v8
	s_cbranch_vccz .LBB1_12
; %bb.11:                               ;   in Loop: Header=BB1_6 Depth=1
	v_cvt_i32_f32_e32 v6, v8
	s_mov_b64 s[2:3], 0
.LBB1_12:                               ;   in Loop: Header=BB1_6 Depth=1
	s_andn2_b64 vcc, exec, s[2:3]
	s_cbranch_vccnz .LBB1_5
; %bb.13:                               ;   in Loop: Header=BB1_6 Depth=1
	v_trunc_f32_e32 v6, v8
	v_sub_f32_e32 v9, v8, v6
	v_cmp_ge_f32_e64 s[2:3], |v9|, 0.5
	v_cndmask_b32_e64 v9, 0, 1.0, s[2:3]
	v_bfi_b32 v8, s30, v9, v8
	v_add_f32_e32 v6, v6, v8
	v_trunc_f32_e32 v6, v6
	v_mul_f32_e64 v8, |v6|, s31
	v_floor_f32_e32 v8, v8
	v_fma_f32 v8, v8, s33, |v6|
	v_cvt_u32_f32_e32 v8, v8
	v_ashrrev_i32_e32 v6, 31, v6
	v_xor_b32_e32 v8, v8, v6
	v_sub_u32_e32 v6, v8, v6
	s_branch .LBB1_5
.LBB1_14:
	s_endpgm
.LBB1_15:
                                        ; implicit-def: $sgpr2_sgpr3
	s_branch .LBB1_2
	.section	.rodata,"a",@progbits
	.p2align	6, 0x0
	.amdhsa_kernel _Z6resizeIhLm8EEvPT_miiPKS0_iiffbb
		.amdhsa_group_segment_fixed_size 0
		.amdhsa_private_segment_fixed_size 0
		.amdhsa_kernarg_size 312
		.amdhsa_user_sgpr_count 6
		.amdhsa_user_sgpr_private_segment_buffer 1
		.amdhsa_user_sgpr_dispatch_ptr 0
		.amdhsa_user_sgpr_queue_ptr 0
		.amdhsa_user_sgpr_kernarg_segment_ptr 1
		.amdhsa_user_sgpr_dispatch_id 0
		.amdhsa_user_sgpr_flat_scratch_init 0
		.amdhsa_user_sgpr_private_segment_size 0
		.amdhsa_uses_dynamic_stack 0
		.amdhsa_system_sgpr_private_segment_wavefront_offset 0
		.amdhsa_system_sgpr_workgroup_id_x 1
		.amdhsa_system_sgpr_workgroup_id_y 0
		.amdhsa_system_sgpr_workgroup_id_z 0
		.amdhsa_system_sgpr_workgroup_info 0
		.amdhsa_system_vgpr_workitem_id 0
		.amdhsa_next_free_vgpr 24
		.amdhsa_next_free_sgpr 34
		.amdhsa_reserve_vcc 1
		.amdhsa_reserve_flat_scratch 0
		.amdhsa_float_round_mode_32 0
		.amdhsa_float_round_mode_16_64 0
		.amdhsa_float_denorm_mode_32 3
		.amdhsa_float_denorm_mode_16_64 3
		.amdhsa_dx10_clamp 1
		.amdhsa_ieee_mode 1
		.amdhsa_fp16_overflow 0
		.amdhsa_exception_fp_ieee_invalid_op 0
		.amdhsa_exception_fp_denorm_src 0
		.amdhsa_exception_fp_ieee_div_zero 0
		.amdhsa_exception_fp_ieee_overflow 0
		.amdhsa_exception_fp_ieee_underflow 0
		.amdhsa_exception_fp_ieee_inexact 0
		.amdhsa_exception_int_div_zero 0
	.end_amdhsa_kernel
	.section	.text._Z6resizeIhLm8EEvPT_miiPKS0_iiffbb,"axG",@progbits,_Z6resizeIhLm8EEvPT_miiPKS0_iiffbb,comdat
.Lfunc_end1:
	.size	_Z6resizeIhLm8EEvPT_miiPKS0_iiffbb, .Lfunc_end1-_Z6resizeIhLm8EEvPT_miiPKS0_iiffbb
                                        ; -- End function
	.set _Z6resizeIhLm8EEvPT_miiPKS0_iiffbb.num_vgpr, 24
	.set _Z6resizeIhLm8EEvPT_miiPKS0_iiffbb.num_agpr, 0
	.set _Z6resizeIhLm8EEvPT_miiPKS0_iiffbb.numbered_sgpr, 34
	.set _Z6resizeIhLm8EEvPT_miiPKS0_iiffbb.num_named_barrier, 0
	.set _Z6resizeIhLm8EEvPT_miiPKS0_iiffbb.private_seg_size, 0
	.set _Z6resizeIhLm8EEvPT_miiPKS0_iiffbb.uses_vcc, 1
	.set _Z6resizeIhLm8EEvPT_miiPKS0_iiffbb.uses_flat_scratch, 0
	.set _Z6resizeIhLm8EEvPT_miiPKS0_iiffbb.has_dyn_sized_stack, 0
	.set _Z6resizeIhLm8EEvPT_miiPKS0_iiffbb.has_recursion, 0
	.set _Z6resizeIhLm8EEvPT_miiPKS0_iiffbb.has_indirect_call, 0
	.section	.AMDGPU.csdata,"",@progbits
; Kernel info:
; codeLenInByte = 1860
; TotalNumSgprs: 38
; NumVgprs: 24
; ScratchSize: 0
; MemoryBound: 0
; FloatMode: 240
; IeeeMode: 1
; LDSByteSize: 0 bytes/workgroup (compile time only)
; SGPRBlocks: 4
; VGPRBlocks: 5
; NumSGPRsForWavesPerEU: 38
; NumVGPRsForWavesPerEU: 24
; Occupancy: 10
; WaveLimiterHint : 0
; COMPUTE_PGM_RSRC2:SCRATCH_EN: 0
; COMPUTE_PGM_RSRC2:USER_SGPR: 6
; COMPUTE_PGM_RSRC2:TRAP_HANDLER: 0
; COMPUTE_PGM_RSRC2:TGID_X_EN: 1
; COMPUTE_PGM_RSRC2:TGID_Y_EN: 0
; COMPUTE_PGM_RSRC2:TGID_Z_EN: 0
; COMPUTE_PGM_RSRC2:TIDIG_COMP_CNT: 0
	.section	.text._Z15resize_bilinearItLm8EEvPT_miiPKS0_iiffb,"axG",@progbits,_Z15resize_bilinearItLm8EEvPT_miiPKS0_iiffb,comdat
	.protected	_Z15resize_bilinearItLm8EEvPT_miiPKS0_iiffb ; -- Begin function _Z15resize_bilinearItLm8EEvPT_miiPKS0_iiffb
	.globl	_Z15resize_bilinearItLm8EEvPT_miiPKS0_iiffb
	.p2align	8
	.type	_Z15resize_bilinearItLm8EEvPT_miiPKS0_iiffb,@function
_Z15resize_bilinearItLm8EEvPT_miiPKS0_iiffb: ; @_Z15resize_bilinearItLm8EEvPT_miiPKS0_iiffb
; %bb.0:
	s_load_dwordx4 s[0:3], s[4:5], 0x8
	s_waitcnt lgkmcnt(0)
	s_mul_i32 s12, s3, s2
	s_ashr_i32 s13, s12, 31
	s_or_b64 s[8:9], s[0:1], s[12:13]
	s_mov_b32 s8, 0
	s_cmp_lg_u64 s[8:9], 0
	s_cbranch_scc0 .LBB2_18
; %bb.1:
	v_cvt_f32_u32_e32 v1, s12
	v_cvt_f32_u32_e32 v2, s13
	s_sub_u32 s7, 0, s12
	s_subb_u32 s14, 0, s13
	v_madmk_f32 v1, v2, 0x4f800000, v1
	v_rcp_f32_e32 v1, v1
	v_mul_f32_e32 v1, 0x5f7ffffc, v1
	v_mul_f32_e32 v2, 0x2f800000, v1
	v_trunc_f32_e32 v2, v2
	v_madmk_f32 v1, v2, 0xcf800000, v1
	v_cvt_u32_f32_e32 v2, v2
	v_cvt_u32_f32_e32 v1, v1
	v_readfirstlane_b32 s15, v2
	v_readfirstlane_b32 s10, v1
	s_mul_i32 s11, s7, s15
	s_mul_hi_u32 s17, s7, s10
	s_mul_i32 s16, s14, s10
	s_add_i32 s11, s17, s11
	s_add_i32 s11, s11, s16
	s_mul_i32 s18, s7, s10
	s_mul_i32 s17, s10, s11
	s_mul_hi_u32 s19, s10, s18
	s_mul_hi_u32 s16, s10, s11
	s_add_u32 s17, s19, s17
	s_addc_u32 s16, 0, s16
	s_mul_hi_u32 s20, s15, s18
	s_mul_i32 s18, s15, s18
	s_add_u32 s17, s17, s18
	s_mul_hi_u32 s19, s15, s11
	s_addc_u32 s16, s16, s20
	s_addc_u32 s17, s19, 0
	s_mul_i32 s11, s15, s11
	s_add_u32 s11, s16, s11
	s_addc_u32 s16, 0, s17
	s_add_u32 s17, s10, s11
	s_cselect_b64 s[10:11], -1, 0
	s_cmp_lg_u64 s[10:11], 0
	s_addc_u32 s15, s15, s16
	s_mul_i32 s10, s7, s15
	s_mul_hi_u32 s11, s7, s17
	s_add_i32 s10, s11, s10
	s_mul_i32 s14, s14, s17
	s_add_i32 s10, s10, s14
	s_mul_i32 s7, s7, s17
	s_mul_hi_u32 s14, s15, s7
	s_mul_i32 s16, s15, s7
	s_mul_i32 s19, s17, s10
	s_mul_hi_u32 s7, s17, s7
	s_mul_hi_u32 s18, s17, s10
	s_add_u32 s7, s7, s19
	s_addc_u32 s18, 0, s18
	s_add_u32 s7, s7, s16
	s_mul_hi_u32 s11, s15, s10
	s_addc_u32 s7, s18, s14
	s_addc_u32 s11, s11, 0
	s_mul_i32 s10, s15, s10
	s_add_u32 s7, s7, s10
	s_addc_u32 s14, 0, s11
	s_add_u32 s7, s17, s7
	s_cselect_b64 s[10:11], -1, 0
	s_cmp_lg_u64 s[10:11], 0
	s_addc_u32 s10, s15, s14
	s_mul_i32 s14, s0, s10
	s_mul_hi_u32 s15, s0, s7
	s_mul_hi_u32 s11, s0, s10
	s_add_u32 s14, s15, s14
	s_addc_u32 s11, 0, s11
	s_mul_hi_u32 s16, s1, s7
	s_mul_i32 s7, s1, s7
	s_add_u32 s7, s14, s7
	s_mul_hi_u32 s15, s1, s10
	s_addc_u32 s7, s11, s16
	s_addc_u32 s11, s15, 0
	s_mul_i32 s10, s1, s10
	s_add_u32 s7, s7, s10
	s_addc_u32 s16, 0, s11
	s_mul_i32 s10, s12, s16
	s_mul_hi_u32 s11, s12, s7
	s_add_i32 s10, s11, s10
	s_mul_i32 s11, s13, s7
	s_add_i32 s17, s10, s11
	s_sub_i32 s14, s1, s17
	s_mul_i32 s10, s12, s7
	s_sub_u32 s18, s0, s10
	s_cselect_b64 s[10:11], -1, 0
	s_cmp_lg_u64 s[10:11], 0
	s_subb_u32 s19, s14, s13
	s_sub_u32 s20, s18, s12
	s_cselect_b64 s[14:15], -1, 0
	s_cmp_lg_u64 s[14:15], 0
	s_subb_u32 s14, s19, 0
	s_cmp_ge_u32 s14, s13
	s_cselect_b32 s15, -1, 0
	s_cmp_ge_u32 s20, s12
	s_cselect_b32 s19, -1, 0
	s_cmp_eq_u32 s14, s13
	s_cselect_b32 s14, s19, s15
	s_add_u32 s15, s7, 1
	s_addc_u32 s19, s16, 0
	s_add_u32 s20, s7, 2
	s_addc_u32 s21, s16, 0
	s_cmp_lg_u32 s14, 0
	s_cselect_b32 s14, s20, s15
	s_cselect_b32 s15, s21, s19
	s_cmp_lg_u64 s[10:11], 0
	s_subb_u32 s1, s1, s17
	s_cmp_ge_u32 s1, s13
	s_cselect_b32 s10, -1, 0
	s_cmp_ge_u32 s18, s12
	s_cselect_b32 s11, -1, 0
	s_cmp_eq_u32 s1, s13
	s_cselect_b32 s1, s11, s10
	s_cmp_lg_u32 s1, 0
	s_cselect_b32 s11, s15, s16
	s_cselect_b32 s10, s14, s7
	s_cbranch_execnz .LBB2_3
.LBB2_2:
	v_cvt_f32_u32_e32 v1, s12
	s_sub_i32 s1, 0, s12
	s_mov_b32 s11, 0
	v_rcp_iflag_f32_e32 v1, v1
	v_mul_f32_e32 v1, 0x4f7ffffe, v1
	v_cvt_u32_f32_e32 v1, v1
	v_readfirstlane_b32 s7, v1
	s_mul_i32 s1, s1, s7
	s_mul_hi_u32 s1, s7, s1
	s_add_i32 s7, s7, s1
	s_mul_hi_u32 s1, s0, s7
	s_mul_i32 s8, s1, s12
	s_sub_i32 s0, s0, s8
	s_add_i32 s7, s1, 1
	s_sub_i32 s8, s0, s12
	s_cmp_ge_u32 s0, s12
	s_cselect_b32 s1, s7, s1
	s_cselect_b32 s0, s8, s0
	s_add_i32 s7, s1, 1
	s_cmp_ge_u32 s0, s12
	s_cselect_b32 s10, s7, s1
.LBB2_3:
	s_lshr_b64 s[0:1], s[10:11], 3
	s_mul_i32 s1, s0, s13
	s_mul_hi_u32 s7, s0, s12
	s_load_dword s8, s[4:5], 0x44
	s_add_i32 s1, s7, s1
	s_lshr_b32 s7, s11, 3
	s_mul_i32 s7, s7, s12
	s_add_i32 s1, s1, s7
	s_add_u32 s18, s4, 56
	s_addc_u32 s19, s5, 0
	s_waitcnt lgkmcnt(0)
	s_and_b32 s17, s8, 0xffff
	s_mul_i32 s6, s6, s17
	v_add_u32_e32 v0, s6, v0
	s_mul_i32 s0, s0, s12
	v_ashrrev_i32_e32 v1, 31, v0
	v_cmp_gt_u64_e32 vcc, s[0:1], v[0:1]
	s_and_saveexec_b64 s[6:7], vcc
	s_cbranch_execz .LBB2_17
; %bb.4:
	s_load_dword s16, s[4:5], 0x30
	s_load_dwordx4 s[8:11], s[4:5], 0x20
	s_load_dwordx2 s[6:7], s[4:5], 0x0
	s_load_dwordx2 s[14:15], s[4:5], 0x18
	s_load_dword s35, s[18:19], 0x0
	s_waitcnt lgkmcnt(0)
	s_bitcmp1_b32 s16, 0
	s_cselect_b64 s[4:5], -1, 0
	s_abs_i32 s33, s12
	v_cvt_f32_u32_e32 v1, s33
	s_abs_i32 s34, s3
	v_cvt_f32_u32_e32 v2, s34
	s_sub_i32 s19, 0, s33
	v_rcp_iflag_f32_e32 v1, v1
	s_mul_i32 s16, s9, s8
	v_rcp_iflag_f32_e32 v2, v2
	s_add_i32 s18, s9, -1
	v_mul_f32_e32 v1, 0x4f7ffffe, v1
	v_cvt_u32_f32_e32 v1, v1
	v_mul_f32_e32 v2, 0x4f7ffffe, v2
	v_cvt_u32_f32_e32 v2, v2
	s_mul_i32 s35, s35, s17
	v_mul_lo_u32 v3, s19, v1
	s_sub_i32 s19, 0, s34
	v_mul_lo_u32 v4, s19, v2
	s_ashr_i32 s17, s16, 31
	v_mul_hi_u32 v3, v1, v3
	s_xor_b64 s[4:5], s[4:5], -1
	v_mul_hi_u32 v4, v2, v4
	s_add_i32 s8, s8, -1
	s_ashr_i32 s36, s12, 31
	v_add_u32_e32 v3, v1, v3
	s_ashr_i32 s37, s3, 31
	v_add_u32_e32 v4, v2, v4
	s_lshl_b64 s[20:21], s[16:17], 1
	s_ashr_i32 s19, s18, 31
	s_lshl_b64 s[22:23], s[12:13], 1
	s_mov_b64 s[24:25], 0
	s_mov_b32 s13, 0x7ffffff8
	s_mov_b32 s17, 0x5040100
	s_branch .LBB2_6
.LBB2_5:                                ;   in Loop: Header=BB2_6 Depth=1
	s_or_b64 exec, exec, s[26:27]
	v_add_u32_e32 v0, s35, v0
	v_ashrrev_i32_e32 v1, 31, v0
	v_cmp_le_u64_e32 vcc, s[0:1], v[0:1]
	s_or_b64 s[24:25], vcc, s[24:25]
	s_andn2_b64 exec, exec, s[24:25]
	s_cbranch_execz .LBB2_17
.LBB2_6:                                ; =>This Loop Header: Depth=1
                                        ;     Child Loop BB2_16 Depth 2
	v_sub_u32_e32 v1, 0, v0
	v_max_i32_e32 v2, v0, v1
	v_mul_hi_u32 v1, v2, v4
	v_ashrrev_i32_e32 v5, 31, v0
	s_mov_b64 s[26:27], -1
                                        ; implicit-def: $vgpr9
	v_mul_lo_u32 v1, v1, s34
	v_sub_u32_e32 v1, v2, v1
	v_subrev_u32_e32 v6, s34, v1
	v_cmp_le_u32_e32 vcc, s34, v1
	v_cndmask_b32_e32 v1, v1, v6, vcc
	v_subrev_u32_e32 v6, s34, v1
	v_cmp_le_u32_e32 vcc, s34, v1
	v_cndmask_b32_e32 v1, v1, v6, vcc
	v_xor_b32_e32 v1, v1, v5
	v_sub_u32_e32 v6, v1, v5
	v_cvt_f32_i32_e32 v6, v6
	s_and_b64 vcc, exec, s[4:5]
	s_cbranch_vccz .LBB2_8
; %bb.7:                                ;   in Loop: Header=BB2_6 Depth=1
	v_mul_f32_e32 v9, s11, v6
	s_mov_b64 s[26:27], 0
.LBB2_8:                                ;   in Loop: Header=BB2_6 Depth=1
	s_andn2_b64 vcc, exec, s[26:27]
	s_cbranch_vccnz .LBB2_10
; %bb.9:                                ;   in Loop: Header=BB2_6 Depth=1
	v_add_f32_e32 v6, 0.5, v6
	v_fma_f32 v6, s11, v6, -0.5
	v_max_f32_e32 v9, 0, v6
.LBB2_10:                               ;   in Loop: Header=BB2_6 Depth=1
	v_mul_hi_u32 v6, v2, v3
	v_xor_b32_e32 v8, s36, v5
	s_mov_b64 s[26:27], -1
                                        ; implicit-def: $vgpr15
	v_mul_lo_u32 v7, v6, s33
	v_add_u32_e32 v10, 1, v6
	v_sub_u32_e32 v2, v2, v7
	v_cmp_le_u32_e32 vcc, s33, v2
	v_subrev_u32_e32 v7, s33, v2
	v_cndmask_b32_e32 v6, v6, v10, vcc
	v_cndmask_b32_e32 v2, v2, v7, vcc
	v_add_u32_e32 v7, 1, v6
	v_cmp_le_u32_e32 vcc, s33, v2
	v_cndmask_b32_e32 v2, v6, v7, vcc
	v_xor_b32_e32 v2, v2, v8
	v_sub_u32_e32 v6, v2, v8
	v_mul_lo_u32 v2, v6, s12
	v_sub_u32_e32 v2, v0, v2
	v_sub_u32_e32 v7, 0, v2
	v_max_i32_e32 v7, v2, v7
	v_mul_hi_u32 v8, v7, v4
	v_ashrrev_i32_e32 v2, 31, v2
	v_xor_b32_e32 v14, s37, v2
	v_mul_lo_u32 v10, v8, s34
	v_add_u32_e32 v2, 1, v8
	v_sub_u32_e32 v7, v7, v10
	v_cmp_le_u32_e32 vcc, s34, v7
	v_cndmask_b32_e32 v2, v8, v2, vcc
	v_subrev_u32_e32 v8, s34, v7
	v_cndmask_b32_e32 v7, v7, v8, vcc
	v_add_u32_e32 v8, 1, v2
	v_cmp_le_u32_e32 vcc, s34, v7
	v_cndmask_b32_e32 v2, v2, v8, vcc
	v_xor_b32_e32 v2, v2, v14
	v_sub_u32_e32 v7, v2, v14
	v_cvt_f32_i32_e32 v7, v7
	s_and_b64 vcc, exec, s[4:5]
	s_cbranch_vccnz .LBB2_13
; %bb.11:                               ;   in Loop: Header=BB2_6 Depth=1
	s_andn2_b64 vcc, exec, s[26:27]
	s_cbranch_vccz .LBB2_14
.LBB2_12:                               ;   in Loop: Header=BB2_6 Depth=1
	v_lshlrev_b32_e32 v6, 3, v6
	v_cmp_ne_u32_e32 vcc, s13, v6
	s_and_saveexec_b64 s[26:27], vcc
	s_cbranch_execz .LBB2_5
	s_branch .LBB2_15
.LBB2_13:                               ;   in Loop: Header=BB2_6 Depth=1
	v_mul_f32_e32 v15, s10, v7
	s_cbranch_execnz .LBB2_12
.LBB2_14:                               ;   in Loop: Header=BB2_6 Depth=1
	v_add_f32_e32 v7, 0.5, v7
	v_fma_f32 v7, s10, v7, -0.5
	v_max_f32_e32 v15, 0, v7
	v_lshlrev_b32_e32 v6, 3, v6
	v_cmp_ne_u32_e32 vcc, s13, v6
	s_and_saveexec_b64 s[26:27], vcc
	s_cbranch_execz .LBB2_5
.LBB2_15:                               ;   in Loop: Header=BB2_6 Depth=1
	v_cvt_i32_f32_e32 v18, v15
	v_mul_lo_u32 v12, v6, s16
	v_cvt_i32_f32_e32 v19, v9
	v_mov_b32_e32 v16, s15
	v_min_i32_e32 v7, s8, v18
	v_mad_u64_u32 v[10:11], s[28:29], v7, s9, v[12:13]
	v_ashrrev_i32_e32 v13, 31, v19
	v_mov_b32_e32 v20, s19
	v_ashrrev_i32_e32 v11, 31, v10
	v_add_co_u32_e32 v7, vcc, v19, v10
	v_addc_co_u32_e32 v8, vcc, v13, v11, vcc
	v_lshlrev_b64 v[7:8], 1, v[7:8]
	s_mov_b64 s[30:31], 0
	v_add_co_u32_e32 v7, vcc, s14, v7
	v_addc_co_u32_e32 v8, vcc, v16, v8, vcc
	v_add_u32_e32 v16, 1, v19
	v_ashrrev_i32_e32 v17, 31, v16
	v_cmp_lt_i64_e32 vcc, s[18:19], v[16:17]
	v_cndmask_b32_e32 v21, v17, v20, vcc
	v_mov_b32_e32 v17, s18
	v_cndmask_b32_e32 v20, v16, v17, vcc
	v_add_co_u32_e32 v10, vcc, v20, v10
	v_addc_co_u32_e32 v11, vcc, v21, v11, vcc
	v_lshlrev_b64 v[10:11], 1, v[10:11]
	v_mov_b32_e32 v16, s15
	v_add_co_u32_e32 v10, vcc, s14, v10
	v_addc_co_u32_e32 v11, vcc, v16, v11, vcc
	v_add_u32_e32 v16, 1, v18
	v_min_i32_e32 v16, s8, v16
	v_mad_u64_u32 v[16:17], s[28:29], v16, s9, v[12:13]
	v_mov_b32_e32 v17, s15
	v_ashrrev_i32_e32 v22, 31, v16
	v_add_co_u32_e32 v12, vcc, v19, v16
	v_addc_co_u32_e32 v13, vcc, v13, v22, vcc
	v_lshlrev_b64 v[12:13], 1, v[12:13]
	v_add_co_u32_e32 v12, vcc, s14, v12
	v_addc_co_u32_e32 v13, vcc, v17, v13, vcc
	v_cvt_f32_i32_e32 v17, v19
	v_sub_f32_e32 v9, v9, v17
	v_cvt_f32_i32_e32 v17, v18
	v_cvt_u32_f32_e32 v9, v9
	v_sub_f32_e32 v15, v15, v17
	v_add_co_u32_e32 v17, vcc, v20, v16
	v_mad_u64_u32 v[19:20], s[28:29], s2, v6, v[2:3]
	v_cvt_u32_f32_e32 v18, v15
	v_mov_b32_e32 v20, s15
	v_sub_u32_e32 v2, v19, v14
	v_mad_u64_u32 v[1:2], s[28:29], s3, v2, v[1:2]
	v_perm_b32 v16, v18, v9, s17
	v_addc_co_u32_e32 v18, vcc, v21, v22, vcc
	v_lshlrev_b64 v[17:18], 1, v[17:18]
	v_sub_u32_e32 v1, v1, v5
	v_ashrrev_i32_e32 v2, 31, v1
	v_add_co_u32_e32 v14, vcc, s14, v17
	v_lshlrev_b64 v[1:2], 1, v[1:2]
	v_addc_co_u32_e32 v17, vcc, v20, v18, vcc
	v_mov_b32_e32 v5, s7
	v_add_co_u32_e32 v1, vcc, s6, v1
	v_add_u32_e32 v15, 8, v6
	v_addc_co_u32_e32 v2, vcc, v5, v2, vcc
	s_mov_b64 s[28:29], 0
.LBB2_16:                               ;   Parent Loop BB2_6 Depth=1
                                        ; =>  This Inner Loop Header: Depth=2
	v_add_co_u32_e32 v18, vcc, s30, v7
	v_mov_b32_e32 v5, s31
	v_addc_co_u32_e32 v19, vcc, v8, v5, vcc
	global_load_ushort v20, v[18:19], off
	v_add_co_u32_e32 v18, vcc, s30, v10
	v_addc_co_u32_e32 v19, vcc, v11, v5, vcc
	global_load_ushort v21, v[18:19], off
	v_add_co_u32_e32 v18, vcc, s30, v12
	;; [unrolled: 3-line block ×3, first 2 shown]
	v_addc_co_u32_e32 v19, vcc, v17, v5, vcc
	global_load_ushort v5, v[18:19], off
	v_add_u32_e32 v6, 1, v6
	s_add_u32 s30, s30, s20
	s_addc_u32 s31, s31, s21
	s_waitcnt vmcnt(2)
	v_sub_u16_e32 v19, v21, v20
	s_waitcnt vmcnt(1)
	v_add_u16_e32 v21, v21, v22
	v_sub_u16_e32 v21, v20, v21
	v_sub_u16_e32 v18, v22, v20
	s_waitcnt vmcnt(0)
	v_add_u16_e32 v5, v21, v5
	v_mad_legacy_u16 v5, v5, v9, v18
	v_perm_b32 v5, v5, v19, s17
	v_pk_mul_lo_u16 v5, v5, v16
	v_add_u16_e32 v18, v5, v20
	v_add_u16_sdwa v5, v18, v5 dst_sel:DWORD dst_unused:UNUSED_PAD src0_sel:DWORD src1_sel:WORD_1
	global_store_short v[1:2], v5, off
	v_add_co_u32_e32 v1, vcc, s22, v1
	v_mov_b32_e32 v5, s23
	v_addc_co_u32_e32 v2, vcc, v2, v5, vcc
	v_cmp_ge_i32_e32 vcc, v6, v15
	s_or_b64 s[28:29], vcc, s[28:29]
	s_andn2_b64 exec, exec, s[28:29]
	s_cbranch_execnz .LBB2_16
	s_branch .LBB2_5
.LBB2_17:
	s_endpgm
.LBB2_18:
                                        ; implicit-def: $sgpr10_sgpr11
	s_branch .LBB2_2
	.section	.rodata,"a",@progbits
	.p2align	6, 0x0
	.amdhsa_kernel _Z15resize_bilinearItLm8EEvPT_miiPKS0_iiffb
		.amdhsa_group_segment_fixed_size 0
		.amdhsa_private_segment_fixed_size 0
		.amdhsa_kernarg_size 312
		.amdhsa_user_sgpr_count 6
		.amdhsa_user_sgpr_private_segment_buffer 1
		.amdhsa_user_sgpr_dispatch_ptr 0
		.amdhsa_user_sgpr_queue_ptr 0
		.amdhsa_user_sgpr_kernarg_segment_ptr 1
		.amdhsa_user_sgpr_dispatch_id 0
		.amdhsa_user_sgpr_flat_scratch_init 0
		.amdhsa_user_sgpr_private_segment_size 0
		.amdhsa_uses_dynamic_stack 0
		.amdhsa_system_sgpr_private_segment_wavefront_offset 0
		.amdhsa_system_sgpr_workgroup_id_x 1
		.amdhsa_system_sgpr_workgroup_id_y 0
		.amdhsa_system_sgpr_workgroup_id_z 0
		.amdhsa_system_sgpr_workgroup_info 0
		.amdhsa_system_vgpr_workitem_id 0
		.amdhsa_next_free_vgpr 23
		.amdhsa_next_free_sgpr 38
		.amdhsa_reserve_vcc 1
		.amdhsa_reserve_flat_scratch 0
		.amdhsa_float_round_mode_32 0
		.amdhsa_float_round_mode_16_64 0
		.amdhsa_float_denorm_mode_32 3
		.amdhsa_float_denorm_mode_16_64 3
		.amdhsa_dx10_clamp 1
		.amdhsa_ieee_mode 1
		.amdhsa_fp16_overflow 0
		.amdhsa_exception_fp_ieee_invalid_op 0
		.amdhsa_exception_fp_denorm_src 0
		.amdhsa_exception_fp_ieee_div_zero 0
		.amdhsa_exception_fp_ieee_overflow 0
		.amdhsa_exception_fp_ieee_underflow 0
		.amdhsa_exception_fp_ieee_inexact 0
		.amdhsa_exception_int_div_zero 0
	.end_amdhsa_kernel
	.section	.text._Z15resize_bilinearItLm8EEvPT_miiPKS0_iiffb,"axG",@progbits,_Z15resize_bilinearItLm8EEvPT_miiPKS0_iiffb,comdat
.Lfunc_end2:
	.size	_Z15resize_bilinearItLm8EEvPT_miiPKS0_iiffb, .Lfunc_end2-_Z15resize_bilinearItLm8EEvPT_miiPKS0_iiffb
                                        ; -- End function
	.set _Z15resize_bilinearItLm8EEvPT_miiPKS0_iiffb.num_vgpr, 23
	.set _Z15resize_bilinearItLm8EEvPT_miiPKS0_iiffb.num_agpr, 0
	.set _Z15resize_bilinearItLm8EEvPT_miiPKS0_iiffb.numbered_sgpr, 38
	.set _Z15resize_bilinearItLm8EEvPT_miiPKS0_iiffb.num_named_barrier, 0
	.set _Z15resize_bilinearItLm8EEvPT_miiPKS0_iiffb.private_seg_size, 0
	.set _Z15resize_bilinearItLm8EEvPT_miiPKS0_iiffb.uses_vcc, 1
	.set _Z15resize_bilinearItLm8EEvPT_miiPKS0_iiffb.uses_flat_scratch, 0
	.set _Z15resize_bilinearItLm8EEvPT_miiPKS0_iiffb.has_dyn_sized_stack, 0
	.set _Z15resize_bilinearItLm8EEvPT_miiPKS0_iiffb.has_recursion, 0
	.set _Z15resize_bilinearItLm8EEvPT_miiPKS0_iiffb.has_indirect_call, 0
	.section	.AMDGPU.csdata,"",@progbits
; Kernel info:
; codeLenInByte = 1772
; TotalNumSgprs: 42
; NumVgprs: 23
; ScratchSize: 0
; MemoryBound: 0
; FloatMode: 240
; IeeeMode: 1
; LDSByteSize: 0 bytes/workgroup (compile time only)
; SGPRBlocks: 5
; VGPRBlocks: 5
; NumSGPRsForWavesPerEU: 42
; NumVGPRsForWavesPerEU: 23
; Occupancy: 10
; WaveLimiterHint : 0
; COMPUTE_PGM_RSRC2:SCRATCH_EN: 0
; COMPUTE_PGM_RSRC2:USER_SGPR: 6
; COMPUTE_PGM_RSRC2:TRAP_HANDLER: 0
; COMPUTE_PGM_RSRC2:TGID_X_EN: 1
; COMPUTE_PGM_RSRC2:TGID_Y_EN: 0
; COMPUTE_PGM_RSRC2:TGID_Z_EN: 0
; COMPUTE_PGM_RSRC2:TIDIG_COMP_CNT: 0
	.section	.text._Z6resizeItLm8EEvPT_miiPKS0_iiffbb,"axG",@progbits,_Z6resizeItLm8EEvPT_miiPKS0_iiffbb,comdat
	.protected	_Z6resizeItLm8EEvPT_miiPKS0_iiffbb ; -- Begin function _Z6resizeItLm8EEvPT_miiPKS0_iiffbb
	.globl	_Z6resizeItLm8EEvPT_miiPKS0_iiffbb
	.p2align	8
	.type	_Z6resizeItLm8EEvPT_miiPKS0_iiffbb,@function
_Z6resizeItLm8EEvPT_miiPKS0_iiffbb:     ; @_Z6resizeItLm8EEvPT_miiPKS0_iiffbb
; %bb.0:
	s_load_dwordx4 s[8:11], s[4:5], 0x8
	s_waitcnt lgkmcnt(0)
	s_mul_i32 s16, s11, s10
	s_ashr_i32 s17, s16, 31
	s_or_b64 s[0:1], s[8:9], s[16:17]
	s_mov_b32 s0, 0
	s_cmp_lg_u64 s[0:1], 0
	s_cbranch_scc0 .LBB3_15
; %bb.1:
	v_cvt_f32_u32_e32 v1, s16
	v_cvt_f32_u32_e32 v2, s17
	s_sub_u32 s7, 0, s16
	s_subb_u32 s10, 0, s17
	v_madmk_f32 v1, v2, 0x4f800000, v1
	v_rcp_f32_e32 v1, v1
	v_mul_f32_e32 v1, 0x5f7ffffc, v1
	v_mul_f32_e32 v2, 0x2f800000, v1
	v_trunc_f32_e32 v2, v2
	v_madmk_f32 v1, v2, 0xcf800000, v1
	v_cvt_u32_f32_e32 v2, v2
	v_cvt_u32_f32_e32 v1, v1
	v_readfirstlane_b32 s12, v2
	v_readfirstlane_b32 s2, v1
	s_mul_i32 s3, s7, s12
	s_mul_hi_u32 s14, s7, s2
	s_mul_i32 s13, s10, s2
	s_add_i32 s3, s14, s3
	s_add_i32 s3, s3, s13
	s_mul_i32 s15, s7, s2
	s_mul_i32 s14, s2, s3
	s_mul_hi_u32 s18, s2, s15
	s_mul_hi_u32 s13, s2, s3
	s_add_u32 s14, s18, s14
	s_addc_u32 s13, 0, s13
	s_mul_hi_u32 s19, s12, s15
	s_mul_i32 s15, s12, s15
	s_add_u32 s14, s14, s15
	s_mul_hi_u32 s18, s12, s3
	s_addc_u32 s13, s13, s19
	s_addc_u32 s14, s18, 0
	s_mul_i32 s3, s12, s3
	s_add_u32 s3, s13, s3
	s_addc_u32 s13, 0, s14
	s_add_u32 s14, s2, s3
	s_cselect_b64 s[2:3], -1, 0
	s_cmp_lg_u64 s[2:3], 0
	s_addc_u32 s12, s12, s13
	s_mul_i32 s2, s7, s12
	s_mul_hi_u32 s3, s7, s14
	s_add_i32 s2, s3, s2
	s_mul_i32 s10, s10, s14
	s_add_i32 s2, s2, s10
	s_mul_i32 s7, s7, s14
	s_mul_hi_u32 s10, s12, s7
	s_mul_i32 s13, s12, s7
	s_mul_i32 s18, s14, s2
	s_mul_hi_u32 s7, s14, s7
	s_mul_hi_u32 s15, s14, s2
	s_add_u32 s7, s7, s18
	s_addc_u32 s15, 0, s15
	s_add_u32 s7, s7, s13
	s_mul_hi_u32 s3, s12, s2
	s_addc_u32 s7, s15, s10
	s_addc_u32 s3, s3, 0
	s_mul_i32 s2, s12, s2
	s_add_u32 s2, s7, s2
	s_addc_u32 s7, 0, s3
	s_add_u32 s10, s14, s2
	s_cselect_b64 s[2:3], -1, 0
	s_cmp_lg_u64 s[2:3], 0
	s_addc_u32 s2, s12, s7
	s_mul_i32 s7, s8, s2
	s_mul_hi_u32 s12, s8, s10
	s_mul_hi_u32 s3, s8, s2
	s_add_u32 s7, s12, s7
	s_addc_u32 s3, 0, s3
	s_mul_hi_u32 s13, s9, s10
	s_mul_i32 s10, s9, s10
	s_add_u32 s7, s7, s10
	s_mul_hi_u32 s12, s9, s2
	s_addc_u32 s3, s3, s13
	s_addc_u32 s7, s12, 0
	s_mul_i32 s2, s9, s2
	s_add_u32 s10, s3, s2
	s_addc_u32 s7, 0, s7
	s_mul_i32 s2, s16, s7
	s_mul_hi_u32 s3, s16, s10
	s_add_i32 s2, s3, s2
	s_mul_i32 s3, s17, s10
	s_add_i32 s14, s2, s3
	s_sub_i32 s12, s9, s14
	s_mul_i32 s2, s16, s10
	s_sub_u32 s15, s8, s2
	s_cselect_b64 s[2:3], -1, 0
	s_cmp_lg_u64 s[2:3], 0
	s_subb_u32 s18, s12, s17
	s_sub_u32 s19, s15, s16
	s_cselect_b64 s[12:13], -1, 0
	s_cmp_lg_u64 s[12:13], 0
	s_subb_u32 s12, s18, 0
	s_cmp_ge_u32 s12, s17
	s_cselect_b32 s13, -1, 0
	s_cmp_ge_u32 s19, s16
	s_cselect_b32 s18, -1, 0
	s_cmp_eq_u32 s12, s17
	s_cselect_b32 s12, s18, s13
	s_add_u32 s13, s10, 1
	s_addc_u32 s18, s7, 0
	s_add_u32 s19, s10, 2
	s_addc_u32 s20, s7, 0
	s_cmp_lg_u32 s12, 0
	s_cselect_b32 s12, s19, s13
	s_cselect_b32 s13, s20, s18
	s_cmp_lg_u64 s[2:3], 0
	s_subb_u32 s2, s9, s14
	s_cmp_ge_u32 s2, s17
	s_cselect_b32 s3, -1, 0
	s_cmp_ge_u32 s15, s16
	s_cselect_b32 s9, -1, 0
	s_cmp_eq_u32 s2, s17
	s_cselect_b32 s2, s9, s3
	s_cmp_lg_u32 s2, 0
	s_cselect_b32 s3, s13, s7
	s_cselect_b32 s2, s12, s10
	s_cbranch_execnz .LBB3_3
.LBB3_2:
	v_cvt_f32_u32_e32 v1, s16
	s_sub_i32 s0, 0, s16
	s_mov_b32 s3, 0
	v_rcp_iflag_f32_e32 v1, v1
	v_mul_f32_e32 v1, 0x4f7ffffe, v1
	v_cvt_u32_f32_e32 v1, v1
	v_readfirstlane_b32 s1, v1
	s_mul_i32 s0, s0, s1
	s_mul_hi_u32 s0, s1, s0
	s_add_i32 s1, s1, s0
	s_mul_hi_u32 s0, s8, s1
	s_mul_i32 s2, s0, s16
	s_sub_i32 s2, s8, s2
	s_add_i32 s1, s0, 1
	s_sub_i32 s7, s2, s16
	s_cmp_ge_u32 s2, s16
	s_cselect_b32 s0, s1, s0
	s_cselect_b32 s2, s7, s2
	s_add_i32 s1, s0, 1
	s_cmp_ge_u32 s2, s16
	s_cselect_b32 s2, s1, s0
.LBB3_3:
	s_lshr_b64 s[0:1], s[2:3], 3
	s_mul_i32 s1, s0, s17
	s_mul_hi_u32 s2, s0, s16
	s_add_i32 s1, s2, s1
	s_lshr_b32 s2, s3, 3
	s_load_dword s3, s[4:5], 0x44
	s_mul_i32 s2, s2, s16
	s_add_i32 s9, s1, s2
	s_mul_i32 s8, s0, s16
	s_add_u32 s0, s4, 56
	s_addc_u32 s1, s5, 0
	s_waitcnt lgkmcnt(0)
	s_and_b32 s2, s3, 0xffff
	s_mul_i32 s6, s6, s2
	v_add_u32_e32 v0, s6, v0
	v_ashrrev_i32_e32 v1, 31, v0
	v_cmp_gt_u64_e32 vcc, s[8:9], v[0:1]
	s_and_saveexec_b64 s[6:7], vcc
	s_cbranch_execz .LBB3_14
; %bb.4:
	s_load_dword s3, s[4:5], 0x30
	s_load_dwordx4 s[12:15], s[4:5], 0x20
	s_load_dword s29, s[0:1], 0x0
	s_load_dwordx2 s[18:19], s[4:5], 0x0
	s_load_dwordx2 s[20:21], s[4:5], 0x18
	s_mov_b64 s[22:23], 0
	s_waitcnt lgkmcnt(0)
	s_bitcmp1_b32 s3, 0
	s_cselect_b64 s[0:1], -1, 0
	s_xor_b64 s[6:7], s[0:1], -1
	s_bitcmp1_b32 s3, 8
	s_cselect_b64 s[0:1], -1, 0
	s_abs_i32 s10, s16
	s_abs_i32 s28, s11
	v_cvt_f32_u32_e32 v1, s10
	v_cvt_f32_u32_e32 v2, s28
	s_mul_i32 s29, s29, s2
	s_sub_i32 s2, 0, s10
	v_rcp_iflag_f32_e32 v1, v1
	v_rcp_iflag_f32_e32 v2, v2
	s_mul_i32 s4, s13, s12
	s_ashr_i32 s5, s4, 31
	v_mul_f32_e32 v1, 0x4f7ffffe, v1
	v_cvt_u32_f32_e32 v1, v1
	v_mul_f32_e32 v2, 0x4f7ffffe, v2
	v_cvt_u32_f32_e32 v3, v2
	s_add_i32 s30, s13, -1
	v_mul_lo_u32 v2, s2, v1
	s_sub_i32 s2, 0, s28
	v_mul_lo_u32 v4, s2, v3
	s_add_i32 s12, s12, -1
	v_mul_hi_u32 v2, v1, v2
	s_ashr_i32 s31, s16, 31
	v_mul_hi_u32 v4, v3, v4
	s_ashr_i32 s33, s11, 31
	v_add_u32_e32 v2, v1, v2
	s_sub_i32 s34, 0, s16
	v_add_u32_e32 v3, v3, v4
	s_brev_b32 s35, -2
	s_mov_b32 s36, 0x2f800000
	s_mov_b32 s37, 0xcf800000
	s_lshl_b64 s[24:25], s[4:5], 1
	s_lshl_b64 s[26:27], s[16:17], 1
	s_branch .LBB3_6
.LBB3_5:                                ;   in Loop: Header=BB3_6 Depth=1
	v_lshlrev_b32_e32 v15, 3, v5
	v_min_i32_e32 v5, s12, v7
	v_mul_lo_u32 v7, v15, s4
	v_mul_lo_u32 v5, v5, s13
	v_min_i32_e32 v6, s30, v6
	v_mov_b32_e32 v16, s25
	v_add_u32_e32 v0, s29, v0
	v_add3_u32 v5, v5, v7, v6
	v_ashrrev_i32_e32 v6, 31, v5
	v_lshlrev_b64 v[5:6], 1, v[5:6]
	v_mov_b32_e32 v7, s21
	v_add_co_u32_e32 v5, vcc, s20, v5
	v_addc_co_u32_e32 v6, vcc, v7, v6, vcc
	v_add_co_u32_e32 v7, vcc, s24, v5
	v_addc_co_u32_e32 v8, vcc, v6, v16, vcc
	global_load_ushort v17, v[5:6], off
	global_load_ushort v18, v[7:8], off
	v_add_co_u32_e32 v5, vcc, s24, v7
	v_addc_co_u32_e32 v6, vcc, v8, v16, vcc
	v_add_co_u32_e32 v7, vcc, s24, v5
	v_addc_co_u32_e32 v8, vcc, v6, v16, vcc
	v_add_co_u32_e32 v9, vcc, s24, v7
	v_addc_co_u32_e32 v10, vcc, v8, v16, vcc
	v_add_co_u32_e32 v11, vcc, s24, v9
	v_addc_co_u32_e32 v12, vcc, v10, v16, vcc
	v_add_co_u32_e32 v13, vcc, s24, v11
	v_addc_co_u32_e32 v14, vcc, v12, v16, vcc
	global_load_ushort v19, v[5:6], off
	global_load_ushort v20, v[7:8], off
	;; [unrolled: 1-line block ×5, first 2 shown]
	v_add_co_u32_e32 v5, vcc, s24, v13
	v_addc_co_u32_e32 v6, vcc, v14, v16, vcc
	global_load_ushort v14, v[5:6], off
	v_mul_lo_u32 v5, v1, s11
	v_mul_lo_u32 v7, v15, s16
	v_mov_b32_e32 v6, s19
	v_mov_b32_e32 v16, s27
	v_ashrrev_i32_e32 v1, 31, v0
	v_add3_u32 v4, v5, v7, v4
	v_ashrrev_i32_e32 v5, 31, v4
	v_lshlrev_b64 v[4:5], 1, v[4:5]
	v_cmp_le_u64_e32 vcc, s[8:9], v[0:1]
	v_add_co_u32_e64 v4, s[2:3], s18, v4
	v_addc_co_u32_e64 v5, s[2:3], v6, v5, s[2:3]
	v_add_co_u32_e64 v6, s[2:3], s26, v4
	v_addc_co_u32_e64 v7, s[2:3], v5, v16, s[2:3]
	;; [unrolled: 2-line block ×4, first 2 shown]
	s_or_b64 s[22:23], vcc, s[22:23]
	s_waitcnt vmcnt(7)
	global_store_short v[4:5], v17, off
	v_add_co_u32_e64 v4, s[2:3], s26, v10
	v_addc_co_u32_e64 v5, s[2:3], v11, v16, s[2:3]
	v_add_co_u32_e64 v12, s[2:3], s26, v4
	v_addc_co_u32_e64 v13, s[2:3], v5, v16, s[2:3]
	s_waitcnt vmcnt(7)
	global_store_short v[6:7], v18, off
	v_add_co_u32_e64 v6, s[2:3], s26, v12
	v_addc_co_u32_e64 v7, s[2:3], v13, v16, s[2:3]
	s_waitcnt vmcnt(7)
	global_store_short v[8:9], v19, off
	s_waitcnt vmcnt(7)
	global_store_short v[10:11], v20, off
	;; [unrolled: 2-line block ×5, first 2 shown]
	v_add_co_u32_e64 v4, s[2:3], s26, v6
	v_addc_co_u32_e64 v5, s[2:3], v7, v16, s[2:3]
	s_waitcnt vmcnt(7)
	global_store_short v[4:5], v14, off
	s_andn2_b64 exec, exec, s[22:23]
	s_cbranch_execz .LBB3_14
.LBB3_6:                                ; =>This Inner Loop Header: Depth=1
	v_sub_u32_e32 v1, 0, v0
	v_max_i32_e32 v6, v0, v1
	v_mul_hi_u32 v1, v6, v2
	v_ashrrev_i32_e32 v4, 31, v0
	v_xor_b32_e32 v7, s31, v4
	v_mul_lo_u32 v5, v1, s10
	v_add_u32_e32 v8, 1, v1
	v_sub_u32_e32 v5, v6, v5
	v_cmp_le_u32_e32 vcc, s10, v5
	v_cndmask_b32_e32 v1, v1, v8, vcc
	v_subrev_u32_e32 v8, s10, v5
	v_cndmask_b32_e32 v5, v5, v8, vcc
	v_add_u32_e32 v8, 1, v1
	v_cmp_le_u32_e32 vcc, s10, v5
	v_cndmask_b32_e32 v1, v1, v8, vcc
	v_xor_b32_e32 v1, v1, v7
	v_sub_u32_e32 v5, v1, v7
	v_mad_u64_u32 v[7:8], s[2:3], s34, v5, v[0:1]
	v_mul_lo_u32 v1, v5, s16
	s_mov_b64 s[2:3], -1
	v_ashrrev_i32_e32 v7, 31, v7
	v_sub_u32_e32 v1, v7, v1
	v_add_u32_e32 v1, v0, v1
	v_xor_b32_e32 v1, v1, v7
	v_mul_hi_u32 v8, v1, v3
	v_xor_b32_e32 v7, s33, v7
	v_mul_lo_u32 v9, v8, s28
	v_add_u32_e32 v10, 1, v8
	v_sub_u32_e32 v1, v1, v9
	v_cmp_le_u32_e32 vcc, s28, v1
	v_subrev_u32_e32 v9, s28, v1
	v_cndmask_b32_e32 v8, v8, v10, vcc
	v_cndmask_b32_e32 v1, v1, v9, vcc
	v_add_u32_e32 v9, 1, v8
	v_cmp_le_u32_e32 vcc, s28, v1
	v_cndmask_b32_e32 v1, v8, v9, vcc
	v_xor_b32_e32 v1, v1, v7
	v_sub_u32_e32 v1, v1, v7
	v_cvt_f32_i32_e32 v8, v1
	s_and_b64 vcc, exec, s[6:7]
                                        ; implicit-def: $vgpr7
	v_add_f32_e32 v9, 0.5, v8
	v_cndmask_b32_e64 v8, v8, v9, s[0:1]
	v_mul_f32_e32 v8, s14, v8
	s_cbranch_vccz .LBB3_8
; %bb.7:                                ;   in Loop: Header=BB3_6 Depth=1
	v_cvt_i32_f32_e32 v7, v8
	s_mov_b64 s[2:3], 0
.LBB3_8:                                ;   in Loop: Header=BB3_6 Depth=1
	s_andn2_b64 vcc, exec, s[2:3]
	s_cbranch_vccnz .LBB3_10
; %bb.9:                                ;   in Loop: Header=BB3_6 Depth=1
	v_trunc_f32_e32 v7, v8
	v_sub_f32_e32 v9, v8, v7
	v_cmp_ge_f32_e64 s[2:3], |v9|, 0.5
	v_cndmask_b32_e64 v9, 0, 1.0, s[2:3]
	v_bfi_b32 v8, s35, v9, v8
	v_add_f32_e32 v7, v7, v8
	v_trunc_f32_e32 v7, v7
	v_mul_f32_e64 v8, |v7|, s36
	v_floor_f32_e32 v8, v8
	v_fma_f32 v8, v8, s37, |v7|
	v_cvt_u32_f32_e32 v8, v8
	v_ashrrev_i32_e32 v7, 31, v7
	v_xor_b32_e32 v8, v8, v7
	v_sub_u32_e32 v7, v8, v7
.LBB3_10:                               ;   in Loop: Header=BB3_6 Depth=1
	v_mul_hi_u32 v8, v6, v3
	s_mov_b64 s[2:3], -1
	v_mul_lo_u32 v8, v8, s28
	v_sub_u32_e32 v6, v6, v8
	v_subrev_u32_e32 v8, s28, v6
	v_cmp_le_u32_e32 vcc, s28, v6
	v_cndmask_b32_e32 v6, v6, v8, vcc
	v_subrev_u32_e32 v8, s28, v6
	v_cmp_le_u32_e32 vcc, s28, v6
	v_cndmask_b32_e32 v6, v6, v8, vcc
	v_xor_b32_e32 v6, v6, v4
	v_sub_u32_e32 v4, v6, v4
	v_cvt_f32_i32_e32 v8, v4
	s_and_b64 vcc, exec, s[6:7]
                                        ; implicit-def: $vgpr6
	v_add_f32_e32 v9, 0.5, v8
	v_cndmask_b32_e64 v8, v8, v9, s[0:1]
	v_mul_f32_e32 v8, s15, v8
	s_cbranch_vccz .LBB3_12
; %bb.11:                               ;   in Loop: Header=BB3_6 Depth=1
	v_cvt_i32_f32_e32 v6, v8
	s_mov_b64 s[2:3], 0
.LBB3_12:                               ;   in Loop: Header=BB3_6 Depth=1
	s_andn2_b64 vcc, exec, s[2:3]
	s_cbranch_vccnz .LBB3_5
; %bb.13:                               ;   in Loop: Header=BB3_6 Depth=1
	v_trunc_f32_e32 v6, v8
	v_sub_f32_e32 v9, v8, v6
	v_cmp_ge_f32_e64 s[2:3], |v9|, 0.5
	v_cndmask_b32_e64 v9, 0, 1.0, s[2:3]
	v_bfi_b32 v8, s35, v9, v8
	v_add_f32_e32 v6, v6, v8
	v_trunc_f32_e32 v6, v6
	v_mul_f32_e64 v8, |v6|, s36
	v_floor_f32_e32 v8, v8
	v_fma_f32 v8, v8, s37, |v6|
	v_cvt_u32_f32_e32 v8, v8
	v_ashrrev_i32_e32 v6, 31, v6
	v_xor_b32_e32 v8, v8, v6
	v_sub_u32_e32 v6, v8, v6
	s_branch .LBB3_5
.LBB3_14:
	s_endpgm
.LBB3_15:
                                        ; implicit-def: $sgpr2_sgpr3
	s_branch .LBB3_2
	.section	.rodata,"a",@progbits
	.p2align	6, 0x0
	.amdhsa_kernel _Z6resizeItLm8EEvPT_miiPKS0_iiffbb
		.amdhsa_group_segment_fixed_size 0
		.amdhsa_private_segment_fixed_size 0
		.amdhsa_kernarg_size 312
		.amdhsa_user_sgpr_count 6
		.amdhsa_user_sgpr_private_segment_buffer 1
		.amdhsa_user_sgpr_dispatch_ptr 0
		.amdhsa_user_sgpr_queue_ptr 0
		.amdhsa_user_sgpr_kernarg_segment_ptr 1
		.amdhsa_user_sgpr_dispatch_id 0
		.amdhsa_user_sgpr_flat_scratch_init 0
		.amdhsa_user_sgpr_private_segment_size 0
		.amdhsa_uses_dynamic_stack 0
		.amdhsa_system_sgpr_private_segment_wavefront_offset 0
		.amdhsa_system_sgpr_workgroup_id_x 1
		.amdhsa_system_sgpr_workgroup_id_y 0
		.amdhsa_system_sgpr_workgroup_id_z 0
		.amdhsa_system_sgpr_workgroup_info 0
		.amdhsa_system_vgpr_workitem_id 0
		.amdhsa_next_free_vgpr 24
		.amdhsa_next_free_sgpr 38
		.amdhsa_reserve_vcc 1
		.amdhsa_reserve_flat_scratch 0
		.amdhsa_float_round_mode_32 0
		.amdhsa_float_round_mode_16_64 0
		.amdhsa_float_denorm_mode_32 3
		.amdhsa_float_denorm_mode_16_64 3
		.amdhsa_dx10_clamp 1
		.amdhsa_ieee_mode 1
		.amdhsa_fp16_overflow 0
		.amdhsa_exception_fp_ieee_invalid_op 0
		.amdhsa_exception_fp_denorm_src 0
		.amdhsa_exception_fp_ieee_div_zero 0
		.amdhsa_exception_fp_ieee_overflow 0
		.amdhsa_exception_fp_ieee_underflow 0
		.amdhsa_exception_fp_ieee_inexact 0
		.amdhsa_exception_int_div_zero 0
	.end_amdhsa_kernel
	.section	.text._Z6resizeItLm8EEvPT_miiPKS0_iiffbb,"axG",@progbits,_Z6resizeItLm8EEvPT_miiPKS0_iiffbb,comdat
.Lfunc_end3:
	.size	_Z6resizeItLm8EEvPT_miiPKS0_iiffbb, .Lfunc_end3-_Z6resizeItLm8EEvPT_miiPKS0_iiffbb
                                        ; -- End function
	.set _Z6resizeItLm8EEvPT_miiPKS0_iiffbb.num_vgpr, 24
	.set _Z6resizeItLm8EEvPT_miiPKS0_iiffbb.num_agpr, 0
	.set _Z6resizeItLm8EEvPT_miiPKS0_iiffbb.numbered_sgpr, 38
	.set _Z6resizeItLm8EEvPT_miiPKS0_iiffbb.num_named_barrier, 0
	.set _Z6resizeItLm8EEvPT_miiPKS0_iiffbb.private_seg_size, 0
	.set _Z6resizeItLm8EEvPT_miiPKS0_iiffbb.uses_vcc, 1
	.set _Z6resizeItLm8EEvPT_miiPKS0_iiffbb.uses_flat_scratch, 0
	.set _Z6resizeItLm8EEvPT_miiPKS0_iiffbb.has_dyn_sized_stack, 0
	.set _Z6resizeItLm8EEvPT_miiPKS0_iiffbb.has_recursion, 0
	.set _Z6resizeItLm8EEvPT_miiPKS0_iiffbb.has_indirect_call, 0
	.section	.AMDGPU.csdata,"",@progbits
; Kernel info:
; codeLenInByte = 1884
; TotalNumSgprs: 42
; NumVgprs: 24
; ScratchSize: 0
; MemoryBound: 0
; FloatMode: 240
; IeeeMode: 1
; LDSByteSize: 0 bytes/workgroup (compile time only)
; SGPRBlocks: 5
; VGPRBlocks: 5
; NumSGPRsForWavesPerEU: 42
; NumVGPRsForWavesPerEU: 24
; Occupancy: 10
; WaveLimiterHint : 0
; COMPUTE_PGM_RSRC2:SCRATCH_EN: 0
; COMPUTE_PGM_RSRC2:USER_SGPR: 6
; COMPUTE_PGM_RSRC2:TRAP_HANDLER: 0
; COMPUTE_PGM_RSRC2:TGID_X_EN: 1
; COMPUTE_PGM_RSRC2:TGID_Y_EN: 0
; COMPUTE_PGM_RSRC2:TGID_Z_EN: 0
; COMPUTE_PGM_RSRC2:TIDIG_COMP_CNT: 0
	.section	.text._Z15resize_bilinearIjLm8EEvPT_miiPKS0_iiffb,"axG",@progbits,_Z15resize_bilinearIjLm8EEvPT_miiPKS0_iiffb,comdat
	.protected	_Z15resize_bilinearIjLm8EEvPT_miiPKS0_iiffb ; -- Begin function _Z15resize_bilinearIjLm8EEvPT_miiPKS0_iiffb
	.globl	_Z15resize_bilinearIjLm8EEvPT_miiPKS0_iiffb
	.p2align	8
	.type	_Z15resize_bilinearIjLm8EEvPT_miiPKS0_iiffb,@function
_Z15resize_bilinearIjLm8EEvPT_miiPKS0_iiffb: ; @_Z15resize_bilinearIjLm8EEvPT_miiPKS0_iiffb
; %bb.0:
	s_load_dwordx4 s[0:3], s[4:5], 0x8
	s_waitcnt lgkmcnt(0)
	s_mul_i32 s12, s3, s2
	s_ashr_i32 s13, s12, 31
	s_or_b64 s[8:9], s[0:1], s[12:13]
	s_mov_b32 s8, 0
	s_cmp_lg_u64 s[8:9], 0
	s_cbranch_scc0 .LBB4_18
; %bb.1:
	v_cvt_f32_u32_e32 v1, s12
	v_cvt_f32_u32_e32 v2, s13
	s_sub_u32 s7, 0, s12
	s_subb_u32 s14, 0, s13
	v_madmk_f32 v1, v2, 0x4f800000, v1
	v_rcp_f32_e32 v1, v1
	v_mul_f32_e32 v1, 0x5f7ffffc, v1
	v_mul_f32_e32 v2, 0x2f800000, v1
	v_trunc_f32_e32 v2, v2
	v_madmk_f32 v1, v2, 0xcf800000, v1
	v_cvt_u32_f32_e32 v2, v2
	v_cvt_u32_f32_e32 v1, v1
	v_readfirstlane_b32 s15, v2
	v_readfirstlane_b32 s10, v1
	s_mul_i32 s11, s7, s15
	s_mul_hi_u32 s17, s7, s10
	s_mul_i32 s16, s14, s10
	s_add_i32 s11, s17, s11
	s_add_i32 s11, s11, s16
	s_mul_i32 s18, s7, s10
	s_mul_i32 s17, s10, s11
	s_mul_hi_u32 s19, s10, s18
	s_mul_hi_u32 s16, s10, s11
	s_add_u32 s17, s19, s17
	s_addc_u32 s16, 0, s16
	s_mul_hi_u32 s20, s15, s18
	s_mul_i32 s18, s15, s18
	s_add_u32 s17, s17, s18
	s_mul_hi_u32 s19, s15, s11
	s_addc_u32 s16, s16, s20
	s_addc_u32 s17, s19, 0
	s_mul_i32 s11, s15, s11
	s_add_u32 s11, s16, s11
	s_addc_u32 s16, 0, s17
	s_add_u32 s17, s10, s11
	s_cselect_b64 s[10:11], -1, 0
	s_cmp_lg_u64 s[10:11], 0
	s_addc_u32 s15, s15, s16
	s_mul_i32 s10, s7, s15
	s_mul_hi_u32 s11, s7, s17
	s_add_i32 s10, s11, s10
	s_mul_i32 s14, s14, s17
	s_add_i32 s10, s10, s14
	s_mul_i32 s7, s7, s17
	s_mul_hi_u32 s14, s15, s7
	s_mul_i32 s16, s15, s7
	s_mul_i32 s19, s17, s10
	s_mul_hi_u32 s7, s17, s7
	s_mul_hi_u32 s18, s17, s10
	s_add_u32 s7, s7, s19
	s_addc_u32 s18, 0, s18
	s_add_u32 s7, s7, s16
	s_mul_hi_u32 s11, s15, s10
	s_addc_u32 s7, s18, s14
	s_addc_u32 s11, s11, 0
	s_mul_i32 s10, s15, s10
	s_add_u32 s7, s7, s10
	s_addc_u32 s14, 0, s11
	s_add_u32 s7, s17, s7
	s_cselect_b64 s[10:11], -1, 0
	s_cmp_lg_u64 s[10:11], 0
	s_addc_u32 s10, s15, s14
	s_mul_i32 s14, s0, s10
	s_mul_hi_u32 s15, s0, s7
	s_mul_hi_u32 s11, s0, s10
	s_add_u32 s14, s15, s14
	s_addc_u32 s11, 0, s11
	s_mul_hi_u32 s16, s1, s7
	s_mul_i32 s7, s1, s7
	s_add_u32 s7, s14, s7
	s_mul_hi_u32 s15, s1, s10
	s_addc_u32 s7, s11, s16
	s_addc_u32 s11, s15, 0
	s_mul_i32 s10, s1, s10
	s_add_u32 s7, s7, s10
	s_addc_u32 s16, 0, s11
	s_mul_i32 s10, s12, s16
	s_mul_hi_u32 s11, s12, s7
	s_add_i32 s10, s11, s10
	s_mul_i32 s11, s13, s7
	s_add_i32 s17, s10, s11
	s_sub_i32 s14, s1, s17
	s_mul_i32 s10, s12, s7
	s_sub_u32 s18, s0, s10
	s_cselect_b64 s[10:11], -1, 0
	s_cmp_lg_u64 s[10:11], 0
	s_subb_u32 s19, s14, s13
	s_sub_u32 s20, s18, s12
	s_cselect_b64 s[14:15], -1, 0
	s_cmp_lg_u64 s[14:15], 0
	s_subb_u32 s14, s19, 0
	s_cmp_ge_u32 s14, s13
	s_cselect_b32 s15, -1, 0
	s_cmp_ge_u32 s20, s12
	s_cselect_b32 s19, -1, 0
	s_cmp_eq_u32 s14, s13
	s_cselect_b32 s14, s19, s15
	s_add_u32 s15, s7, 1
	s_addc_u32 s19, s16, 0
	s_add_u32 s20, s7, 2
	s_addc_u32 s21, s16, 0
	s_cmp_lg_u32 s14, 0
	s_cselect_b32 s14, s20, s15
	s_cselect_b32 s15, s21, s19
	s_cmp_lg_u64 s[10:11], 0
	s_subb_u32 s1, s1, s17
	s_cmp_ge_u32 s1, s13
	s_cselect_b32 s10, -1, 0
	s_cmp_ge_u32 s18, s12
	s_cselect_b32 s11, -1, 0
	s_cmp_eq_u32 s1, s13
	s_cselect_b32 s1, s11, s10
	s_cmp_lg_u32 s1, 0
	s_cselect_b32 s11, s15, s16
	s_cselect_b32 s10, s14, s7
	s_cbranch_execnz .LBB4_3
.LBB4_2:
	v_cvt_f32_u32_e32 v1, s12
	s_sub_i32 s1, 0, s12
	s_mov_b32 s11, 0
	v_rcp_iflag_f32_e32 v1, v1
	v_mul_f32_e32 v1, 0x4f7ffffe, v1
	v_cvt_u32_f32_e32 v1, v1
	v_readfirstlane_b32 s7, v1
	s_mul_i32 s1, s1, s7
	s_mul_hi_u32 s1, s7, s1
	s_add_i32 s7, s7, s1
	s_mul_hi_u32 s1, s0, s7
	s_mul_i32 s8, s1, s12
	s_sub_i32 s0, s0, s8
	s_add_i32 s7, s1, 1
	s_sub_i32 s8, s0, s12
	s_cmp_ge_u32 s0, s12
	s_cselect_b32 s1, s7, s1
	s_cselect_b32 s0, s8, s0
	s_add_i32 s7, s1, 1
	s_cmp_ge_u32 s0, s12
	s_cselect_b32 s10, s7, s1
.LBB4_3:
	s_lshr_b64 s[0:1], s[10:11], 3
	s_mul_i32 s1, s0, s13
	s_mul_hi_u32 s7, s0, s12
	s_load_dword s8, s[4:5], 0x44
	s_add_i32 s1, s7, s1
	s_lshr_b32 s7, s11, 3
	s_mul_i32 s7, s7, s12
	s_add_i32 s1, s1, s7
	s_add_u32 s18, s4, 56
	s_addc_u32 s19, s5, 0
	s_waitcnt lgkmcnt(0)
	s_and_b32 s17, s8, 0xffff
	s_mul_i32 s6, s6, s17
	v_add_u32_e32 v0, s6, v0
	s_mul_i32 s0, s0, s12
	v_ashrrev_i32_e32 v1, 31, v0
	v_cmp_gt_u64_e32 vcc, s[0:1], v[0:1]
	s_and_saveexec_b64 s[6:7], vcc
	s_cbranch_execz .LBB4_17
; %bb.4:
	s_load_dword s16, s[4:5], 0x30
	s_load_dwordx4 s[8:11], s[4:5], 0x20
	s_load_dwordx2 s[6:7], s[4:5], 0x0
	s_load_dwordx2 s[14:15], s[4:5], 0x18
	s_load_dword s35, s[18:19], 0x0
	s_waitcnt lgkmcnt(0)
	s_bitcmp1_b32 s16, 0
	s_cselect_b64 s[4:5], -1, 0
	s_abs_i32 s33, s12
	v_cvt_f32_u32_e32 v1, s33
	s_abs_i32 s34, s3
	v_cvt_f32_u32_e32 v2, s34
	s_sub_i32 s19, 0, s33
	v_rcp_iflag_f32_e32 v1, v1
	s_mul_i32 s16, s9, s8
	v_rcp_iflag_f32_e32 v2, v2
	s_add_i32 s18, s9, -1
	v_mul_f32_e32 v1, 0x4f7ffffe, v1
	v_cvt_u32_f32_e32 v1, v1
	v_mul_f32_e32 v2, 0x4f7ffffe, v2
	v_cvt_u32_f32_e32 v2, v2
	s_mul_i32 s35, s35, s17
	v_mul_lo_u32 v3, s19, v1
	s_sub_i32 s19, 0, s34
	v_mul_lo_u32 v4, s19, v2
	s_ashr_i32 s17, s16, 31
	v_mul_hi_u32 v3, v1, v3
	s_xor_b64 s[4:5], s[4:5], -1
	v_mul_hi_u32 v4, v2, v4
	s_add_i32 s8, s8, -1
	s_ashr_i32 s36, s12, 31
	v_add_u32_e32 v3, v1, v3
	s_ashr_i32 s37, s3, 31
	v_add_u32_e32 v4, v2, v4
	s_lshl_b64 s[20:21], s[16:17], 2
	s_ashr_i32 s19, s18, 31
	s_lshl_b64 s[22:23], s[12:13], 2
	s_mov_b64 s[24:25], 0
	s_mov_b32 s13, 0x7ffffff8
	s_branch .LBB4_6
.LBB4_5:                                ;   in Loop: Header=BB4_6 Depth=1
	s_or_b64 exec, exec, s[26:27]
	v_add_u32_e32 v0, s35, v0
	v_ashrrev_i32_e32 v1, 31, v0
	v_cmp_le_u64_e32 vcc, s[0:1], v[0:1]
	s_or_b64 s[24:25], vcc, s[24:25]
	s_andn2_b64 exec, exec, s[24:25]
	s_cbranch_execz .LBB4_17
.LBB4_6:                                ; =>This Loop Header: Depth=1
                                        ;     Child Loop BB4_16 Depth 2
	v_sub_u32_e32 v1, 0, v0
	v_max_i32_e32 v2, v0, v1
	v_mul_hi_u32 v1, v2, v4
	v_ashrrev_i32_e32 v5, 31, v0
	s_mov_b64 s[26:27], -1
                                        ; implicit-def: $vgpr7
	v_mul_lo_u32 v1, v1, s34
	v_sub_u32_e32 v1, v2, v1
	v_subrev_u32_e32 v6, s34, v1
	v_cmp_le_u32_e32 vcc, s34, v1
	v_cndmask_b32_e32 v1, v1, v6, vcc
	v_subrev_u32_e32 v6, s34, v1
	v_cmp_le_u32_e32 vcc, s34, v1
	v_cndmask_b32_e32 v1, v1, v6, vcc
	v_xor_b32_e32 v1, v1, v5
	v_sub_u32_e32 v6, v1, v5
	v_cvt_f32_i32_e32 v6, v6
	s_and_b64 vcc, exec, s[4:5]
	s_cbranch_vccz .LBB4_8
; %bb.7:                                ;   in Loop: Header=BB4_6 Depth=1
	v_mul_f32_e32 v7, s11, v6
	s_mov_b64 s[26:27], 0
.LBB4_8:                                ;   in Loop: Header=BB4_6 Depth=1
	s_andn2_b64 vcc, exec, s[26:27]
	s_cbranch_vccnz .LBB4_10
; %bb.9:                                ;   in Loop: Header=BB4_6 Depth=1
	v_add_f32_e32 v6, 0.5, v6
	v_fma_f32 v6, s11, v6, -0.5
	v_max_f32_e32 v7, 0, v6
.LBB4_10:                               ;   in Loop: Header=BB4_6 Depth=1
	v_mul_hi_u32 v6, v2, v3
	v_xor_b32_e32 v9, s36, v5
	s_mov_b64 s[26:27], -1
                                        ; implicit-def: $vgpr15
	v_mul_lo_u32 v8, v6, s33
	v_add_u32_e32 v10, 1, v6
	v_sub_u32_e32 v2, v2, v8
	v_cmp_le_u32_e32 vcc, s33, v2
	v_subrev_u32_e32 v8, s33, v2
	v_cndmask_b32_e32 v6, v6, v10, vcc
	v_cndmask_b32_e32 v2, v2, v8, vcc
	v_add_u32_e32 v8, 1, v6
	v_cmp_le_u32_e32 vcc, s33, v2
	v_cndmask_b32_e32 v2, v6, v8, vcc
	v_xor_b32_e32 v2, v2, v9
	v_sub_u32_e32 v6, v2, v9
	v_mul_lo_u32 v2, v6, s12
	v_sub_u32_e32 v2, v0, v2
	v_sub_u32_e32 v8, 0, v2
	v_max_i32_e32 v8, v2, v8
	v_mul_hi_u32 v9, v8, v4
	v_ashrrev_i32_e32 v2, 31, v2
	v_xor_b32_e32 v13, s37, v2
	v_mul_lo_u32 v10, v9, s34
	v_add_u32_e32 v2, 1, v9
	v_sub_u32_e32 v8, v8, v10
	v_cmp_le_u32_e32 vcc, s34, v8
	v_cndmask_b32_e32 v2, v9, v2, vcc
	v_subrev_u32_e32 v9, s34, v8
	v_cndmask_b32_e32 v8, v8, v9, vcc
	v_add_u32_e32 v9, 1, v2
	v_cmp_le_u32_e32 vcc, s34, v8
	v_cndmask_b32_e32 v2, v2, v9, vcc
	v_xor_b32_e32 v2, v2, v13
	v_sub_u32_e32 v8, v2, v13
	v_cvt_f32_i32_e32 v8, v8
	s_and_b64 vcc, exec, s[4:5]
	s_cbranch_vccnz .LBB4_13
; %bb.11:                               ;   in Loop: Header=BB4_6 Depth=1
	s_andn2_b64 vcc, exec, s[26:27]
	s_cbranch_vccz .LBB4_14
.LBB4_12:                               ;   in Loop: Header=BB4_6 Depth=1
	v_lshlrev_b32_e32 v6, 3, v6
	v_cmp_ne_u32_e32 vcc, s13, v6
	s_and_saveexec_b64 s[26:27], vcc
	s_cbranch_execz .LBB4_5
	s_branch .LBB4_15
.LBB4_13:                               ;   in Loop: Header=BB4_6 Depth=1
	v_mul_f32_e32 v15, s10, v8
	s_cbranch_execnz .LBB4_12
.LBB4_14:                               ;   in Loop: Header=BB4_6 Depth=1
	v_add_f32_e32 v8, 0.5, v8
	v_fma_f32 v8, s10, v8, -0.5
	v_max_f32_e32 v15, 0, v8
	v_lshlrev_b32_e32 v6, 3, v6
	v_cmp_ne_u32_e32 vcc, s13, v6
	s_and_saveexec_b64 s[26:27], vcc
	s_cbranch_execz .LBB4_5
.LBB4_15:                               ;   in Loop: Header=BB4_6 Depth=1
	v_cvt_i32_f32_e32 v19, v15
	v_mul_lo_u32 v12, v6, s16
	v_cvt_i32_f32_e32 v20, v7
	v_mov_b32_e32 v16, s15
	v_min_i32_e32 v8, s8, v19
	v_mad_u64_u32 v[10:11], s[28:29], v8, s9, v[12:13]
	v_ashrrev_i32_e32 v14, 31, v20
	v_mov_b32_e32 v18, s19
	v_ashrrev_i32_e32 v11, 31, v10
	v_add_co_u32_e32 v8, vcc, v20, v10
	v_addc_co_u32_e32 v9, vcc, v14, v11, vcc
	v_lshlrev_b64 v[8:9], 2, v[8:9]
	s_mov_b64 s[30:31], 0
	v_add_co_u32_e32 v8, vcc, s14, v8
	v_addc_co_u32_e32 v9, vcc, v16, v9, vcc
	v_add_u32_e32 v16, 1, v20
	v_ashrrev_i32_e32 v17, 31, v16
	v_cmp_lt_i64_e32 vcc, s[18:19], v[16:17]
	v_cndmask_b32_e32 v21, v17, v18, vcc
	v_mov_b32_e32 v17, s18
	v_cndmask_b32_e32 v22, v16, v17, vcc
	v_add_co_u32_e32 v10, vcc, v22, v10
	v_addc_co_u32_e32 v11, vcc, v21, v11, vcc
	v_lshlrev_b64 v[10:11], 2, v[10:11]
	v_mov_b32_e32 v16, s15
	v_add_co_u32_e32 v10, vcc, s14, v10
	v_addc_co_u32_e32 v11, vcc, v16, v11, vcc
	v_add_u32_e32 v16, 1, v19
	v_min_i32_e32 v16, s8, v16
	v_mad_u64_u32 v[16:17], s[28:29], v16, s9, v[12:13]
	v_ashrrev_i32_e32 v23, 31, v16
	v_add_co_u32_e32 v17, vcc, v20, v16
	v_addc_co_u32_e32 v18, vcc, v14, v23, vcc
	v_lshlrev_b64 v[17:18], 2, v[17:18]
	v_mov_b32_e32 v14, s15
	v_add_co_u32_e32 v12, vcc, s14, v17
	v_cvt_f32_i32_e32 v17, v19
	v_addc_co_u32_e32 v14, vcc, v14, v18, vcc
	v_sub_f32_e32 v15, v15, v17
	v_cvt_f32_i32_e32 v17, v20
	v_mad_u64_u32 v[19:20], s[28:29], s2, v6, v[2:3]
	v_cvt_u32_f32_e32 v15, v15
	v_sub_f32_e32 v18, v7, v17
	v_sub_u32_e32 v2, v19, v13
	v_mad_u64_u32 v[1:2], s[28:29], s3, v2, v[1:2]
	v_add_co_u32_e32 v17, vcc, v22, v16
	v_cvt_u32_f32_e32 v16, v18
	v_addc_co_u32_e32 v18, vcc, v21, v23, vcc
	v_lshlrev_b64 v[17:18], 2, v[17:18]
	v_sub_u32_e32 v1, v1, v5
	v_ashrrev_i32_e32 v2, 31, v1
	v_mov_b32_e32 v20, s15
	v_add_co_u32_e32 v13, vcc, s14, v17
	v_lshlrev_b64 v[1:2], 2, v[1:2]
	v_addc_co_u32_e32 v17, vcc, v20, v18, vcc
	v_mov_b32_e32 v5, s7
	v_add_co_u32_e32 v1, vcc, s6, v1
	v_add_u32_e32 v7, 8, v6
	v_addc_co_u32_e32 v2, vcc, v5, v2, vcc
	s_mov_b64 s[28:29], 0
.LBB4_16:                               ;   Parent Loop BB4_6 Depth=1
                                        ; =>  This Inner Loop Header: Depth=2
	v_add_co_u32_e32 v18, vcc, s30, v8
	v_mov_b32_e32 v5, s31
	v_addc_co_u32_e32 v19, vcc, v9, v5, vcc
	global_load_dword v20, v[18:19], off
	v_add_co_u32_e32 v18, vcc, s30, v10
	v_addc_co_u32_e32 v19, vcc, v11, v5, vcc
	global_load_dword v21, v[18:19], off
	v_add_co_u32_e32 v18, vcc, s30, v12
	;; [unrolled: 3-line block ×3, first 2 shown]
	v_addc_co_u32_e32 v19, vcc, v17, v5, vcc
	global_load_dword v18, v[18:19], off
	s_add_u32 s30, s30, s20
	s_addc_u32 s31, s31, s21
	s_waitcnt vmcnt(2)
	v_sub_u32_e32 v19, v21, v20
	v_mul_lo_u32 v23, v19, v16
	s_waitcnt vmcnt(1)
	v_add_u32_e32 v19, v21, v22
	v_sub_u32_e32 v19, v20, v19
	v_sub_u32_e32 v5, v22, v20
	s_waitcnt vmcnt(0)
	v_add_u32_e32 v18, v19, v18
	v_mad_u64_u32 v[18:19], s[38:39], v18, v16, v[5:6]
	v_add_u32_e32 v6, 1, v6
	v_mul_lo_u32 v5, v18, v15
	v_add3_u32 v5, v23, v20, v5
	global_store_dword v[1:2], v5, off
	v_add_co_u32_e32 v1, vcc, s22, v1
	v_mov_b32_e32 v5, s23
	v_addc_co_u32_e32 v2, vcc, v2, v5, vcc
	v_cmp_ge_i32_e32 vcc, v6, v7
	s_or_b64 s[28:29], vcc, s[28:29]
	s_andn2_b64 exec, exec, s[28:29]
	s_cbranch_execnz .LBB4_16
	s_branch .LBB4_5
.LBB4_17:
	s_endpgm
.LBB4_18:
                                        ; implicit-def: $sgpr10_sgpr11
	s_branch .LBB4_2
	.section	.rodata,"a",@progbits
	.p2align	6, 0x0
	.amdhsa_kernel _Z15resize_bilinearIjLm8EEvPT_miiPKS0_iiffb
		.amdhsa_group_segment_fixed_size 0
		.amdhsa_private_segment_fixed_size 0
		.amdhsa_kernarg_size 312
		.amdhsa_user_sgpr_count 6
		.amdhsa_user_sgpr_private_segment_buffer 1
		.amdhsa_user_sgpr_dispatch_ptr 0
		.amdhsa_user_sgpr_queue_ptr 0
		.amdhsa_user_sgpr_kernarg_segment_ptr 1
		.amdhsa_user_sgpr_dispatch_id 0
		.amdhsa_user_sgpr_flat_scratch_init 0
		.amdhsa_user_sgpr_private_segment_size 0
		.amdhsa_uses_dynamic_stack 0
		.amdhsa_system_sgpr_private_segment_wavefront_offset 0
		.amdhsa_system_sgpr_workgroup_id_x 1
		.amdhsa_system_sgpr_workgroup_id_y 0
		.amdhsa_system_sgpr_workgroup_id_z 0
		.amdhsa_system_sgpr_workgroup_info 0
		.amdhsa_system_vgpr_workitem_id 0
		.amdhsa_next_free_vgpr 24
		.amdhsa_next_free_sgpr 40
		.amdhsa_reserve_vcc 1
		.amdhsa_reserve_flat_scratch 0
		.amdhsa_float_round_mode_32 0
		.amdhsa_float_round_mode_16_64 0
		.amdhsa_float_denorm_mode_32 3
		.amdhsa_float_denorm_mode_16_64 3
		.amdhsa_dx10_clamp 1
		.amdhsa_ieee_mode 1
		.amdhsa_fp16_overflow 0
		.amdhsa_exception_fp_ieee_invalid_op 0
		.amdhsa_exception_fp_denorm_src 0
		.amdhsa_exception_fp_ieee_div_zero 0
		.amdhsa_exception_fp_ieee_overflow 0
		.amdhsa_exception_fp_ieee_underflow 0
		.amdhsa_exception_fp_ieee_inexact 0
		.amdhsa_exception_int_div_zero 0
	.end_amdhsa_kernel
	.section	.text._Z15resize_bilinearIjLm8EEvPT_miiPKS0_iiffb,"axG",@progbits,_Z15resize_bilinearIjLm8EEvPT_miiPKS0_iiffb,comdat
.Lfunc_end4:
	.size	_Z15resize_bilinearIjLm8EEvPT_miiPKS0_iiffb, .Lfunc_end4-_Z15resize_bilinearIjLm8EEvPT_miiPKS0_iiffb
                                        ; -- End function
	.set _Z15resize_bilinearIjLm8EEvPT_miiPKS0_iiffb.num_vgpr, 24
	.set _Z15resize_bilinearIjLm8EEvPT_miiPKS0_iiffb.num_agpr, 0
	.set _Z15resize_bilinearIjLm8EEvPT_miiPKS0_iiffb.numbered_sgpr, 40
	.set _Z15resize_bilinearIjLm8EEvPT_miiPKS0_iiffb.num_named_barrier, 0
	.set _Z15resize_bilinearIjLm8EEvPT_miiPKS0_iiffb.private_seg_size, 0
	.set _Z15resize_bilinearIjLm8EEvPT_miiPKS0_iiffb.uses_vcc, 1
	.set _Z15resize_bilinearIjLm8EEvPT_miiPKS0_iiffb.uses_flat_scratch, 0
	.set _Z15resize_bilinearIjLm8EEvPT_miiPKS0_iiffb.has_dyn_sized_stack, 0
	.set _Z15resize_bilinearIjLm8EEvPT_miiPKS0_iiffb.has_recursion, 0
	.set _Z15resize_bilinearIjLm8EEvPT_miiPKS0_iiffb.has_indirect_call, 0
	.section	.AMDGPU.csdata,"",@progbits
; Kernel info:
; codeLenInByte = 1752
; TotalNumSgprs: 44
; NumVgprs: 24
; ScratchSize: 0
; MemoryBound: 0
; FloatMode: 240
; IeeeMode: 1
; LDSByteSize: 0 bytes/workgroup (compile time only)
; SGPRBlocks: 5
; VGPRBlocks: 5
; NumSGPRsForWavesPerEU: 44
; NumVGPRsForWavesPerEU: 24
; Occupancy: 10
; WaveLimiterHint : 0
; COMPUTE_PGM_RSRC2:SCRATCH_EN: 0
; COMPUTE_PGM_RSRC2:USER_SGPR: 6
; COMPUTE_PGM_RSRC2:TRAP_HANDLER: 0
; COMPUTE_PGM_RSRC2:TGID_X_EN: 1
; COMPUTE_PGM_RSRC2:TGID_Y_EN: 0
; COMPUTE_PGM_RSRC2:TGID_Z_EN: 0
; COMPUTE_PGM_RSRC2:TIDIG_COMP_CNT: 0
	.section	.text._Z6resizeIjLm8EEvPT_miiPKS0_iiffbb,"axG",@progbits,_Z6resizeIjLm8EEvPT_miiPKS0_iiffbb,comdat
	.protected	_Z6resizeIjLm8EEvPT_miiPKS0_iiffbb ; -- Begin function _Z6resizeIjLm8EEvPT_miiPKS0_iiffbb
	.globl	_Z6resizeIjLm8EEvPT_miiPKS0_iiffbb
	.p2align	8
	.type	_Z6resizeIjLm8EEvPT_miiPKS0_iiffbb,@function
_Z6resizeIjLm8EEvPT_miiPKS0_iiffbb:     ; @_Z6resizeIjLm8EEvPT_miiPKS0_iiffbb
; %bb.0:
	s_load_dwordx4 s[8:11], s[4:5], 0x8
	s_waitcnt lgkmcnt(0)
	s_mul_i32 s16, s11, s10
	s_ashr_i32 s17, s16, 31
	s_or_b64 s[0:1], s[8:9], s[16:17]
	s_mov_b32 s0, 0
	s_cmp_lg_u64 s[0:1], 0
	s_cbranch_scc0 .LBB5_15
; %bb.1:
	v_cvt_f32_u32_e32 v1, s16
	v_cvt_f32_u32_e32 v2, s17
	s_sub_u32 s7, 0, s16
	s_subb_u32 s10, 0, s17
	v_madmk_f32 v1, v2, 0x4f800000, v1
	v_rcp_f32_e32 v1, v1
	v_mul_f32_e32 v1, 0x5f7ffffc, v1
	v_mul_f32_e32 v2, 0x2f800000, v1
	v_trunc_f32_e32 v2, v2
	v_madmk_f32 v1, v2, 0xcf800000, v1
	v_cvt_u32_f32_e32 v2, v2
	v_cvt_u32_f32_e32 v1, v1
	v_readfirstlane_b32 s12, v2
	v_readfirstlane_b32 s2, v1
	s_mul_i32 s3, s7, s12
	s_mul_hi_u32 s14, s7, s2
	s_mul_i32 s13, s10, s2
	s_add_i32 s3, s14, s3
	s_add_i32 s3, s3, s13
	s_mul_i32 s15, s7, s2
	s_mul_i32 s14, s2, s3
	s_mul_hi_u32 s18, s2, s15
	s_mul_hi_u32 s13, s2, s3
	s_add_u32 s14, s18, s14
	s_addc_u32 s13, 0, s13
	s_mul_hi_u32 s19, s12, s15
	s_mul_i32 s15, s12, s15
	s_add_u32 s14, s14, s15
	s_mul_hi_u32 s18, s12, s3
	s_addc_u32 s13, s13, s19
	s_addc_u32 s14, s18, 0
	s_mul_i32 s3, s12, s3
	s_add_u32 s3, s13, s3
	s_addc_u32 s13, 0, s14
	s_add_u32 s14, s2, s3
	s_cselect_b64 s[2:3], -1, 0
	s_cmp_lg_u64 s[2:3], 0
	s_addc_u32 s12, s12, s13
	s_mul_i32 s2, s7, s12
	s_mul_hi_u32 s3, s7, s14
	s_add_i32 s2, s3, s2
	s_mul_i32 s10, s10, s14
	s_add_i32 s2, s2, s10
	s_mul_i32 s7, s7, s14
	s_mul_hi_u32 s10, s12, s7
	s_mul_i32 s13, s12, s7
	s_mul_i32 s18, s14, s2
	s_mul_hi_u32 s7, s14, s7
	s_mul_hi_u32 s15, s14, s2
	s_add_u32 s7, s7, s18
	s_addc_u32 s15, 0, s15
	s_add_u32 s7, s7, s13
	s_mul_hi_u32 s3, s12, s2
	s_addc_u32 s7, s15, s10
	s_addc_u32 s3, s3, 0
	s_mul_i32 s2, s12, s2
	s_add_u32 s2, s7, s2
	s_addc_u32 s7, 0, s3
	s_add_u32 s10, s14, s2
	s_cselect_b64 s[2:3], -1, 0
	s_cmp_lg_u64 s[2:3], 0
	s_addc_u32 s2, s12, s7
	s_mul_i32 s7, s8, s2
	s_mul_hi_u32 s12, s8, s10
	s_mul_hi_u32 s3, s8, s2
	s_add_u32 s7, s12, s7
	s_addc_u32 s3, 0, s3
	s_mul_hi_u32 s13, s9, s10
	s_mul_i32 s10, s9, s10
	s_add_u32 s7, s7, s10
	s_mul_hi_u32 s12, s9, s2
	s_addc_u32 s3, s3, s13
	s_addc_u32 s7, s12, 0
	s_mul_i32 s2, s9, s2
	s_add_u32 s10, s3, s2
	s_addc_u32 s7, 0, s7
	s_mul_i32 s2, s16, s7
	s_mul_hi_u32 s3, s16, s10
	s_add_i32 s2, s3, s2
	s_mul_i32 s3, s17, s10
	s_add_i32 s14, s2, s3
	s_sub_i32 s12, s9, s14
	s_mul_i32 s2, s16, s10
	s_sub_u32 s15, s8, s2
	s_cselect_b64 s[2:3], -1, 0
	s_cmp_lg_u64 s[2:3], 0
	s_subb_u32 s18, s12, s17
	s_sub_u32 s19, s15, s16
	s_cselect_b64 s[12:13], -1, 0
	s_cmp_lg_u64 s[12:13], 0
	s_subb_u32 s12, s18, 0
	s_cmp_ge_u32 s12, s17
	s_cselect_b32 s13, -1, 0
	s_cmp_ge_u32 s19, s16
	s_cselect_b32 s18, -1, 0
	s_cmp_eq_u32 s12, s17
	s_cselect_b32 s12, s18, s13
	s_add_u32 s13, s10, 1
	s_addc_u32 s18, s7, 0
	s_add_u32 s19, s10, 2
	s_addc_u32 s20, s7, 0
	s_cmp_lg_u32 s12, 0
	s_cselect_b32 s12, s19, s13
	s_cselect_b32 s13, s20, s18
	s_cmp_lg_u64 s[2:3], 0
	s_subb_u32 s2, s9, s14
	s_cmp_ge_u32 s2, s17
	s_cselect_b32 s3, -1, 0
	s_cmp_ge_u32 s15, s16
	s_cselect_b32 s9, -1, 0
	s_cmp_eq_u32 s2, s17
	s_cselect_b32 s2, s9, s3
	s_cmp_lg_u32 s2, 0
	s_cselect_b32 s3, s13, s7
	s_cselect_b32 s2, s12, s10
	s_cbranch_execnz .LBB5_3
.LBB5_2:
	v_cvt_f32_u32_e32 v1, s16
	s_sub_i32 s0, 0, s16
	s_mov_b32 s3, 0
	v_rcp_iflag_f32_e32 v1, v1
	v_mul_f32_e32 v1, 0x4f7ffffe, v1
	v_cvt_u32_f32_e32 v1, v1
	v_readfirstlane_b32 s1, v1
	s_mul_i32 s0, s0, s1
	s_mul_hi_u32 s0, s1, s0
	s_add_i32 s1, s1, s0
	s_mul_hi_u32 s0, s8, s1
	s_mul_i32 s2, s0, s16
	s_sub_i32 s2, s8, s2
	s_add_i32 s1, s0, 1
	s_sub_i32 s7, s2, s16
	s_cmp_ge_u32 s2, s16
	s_cselect_b32 s0, s1, s0
	s_cselect_b32 s2, s7, s2
	s_add_i32 s1, s0, 1
	s_cmp_ge_u32 s2, s16
	s_cselect_b32 s2, s1, s0
.LBB5_3:
	s_lshr_b64 s[0:1], s[2:3], 3
	s_mul_i32 s1, s0, s17
	s_mul_hi_u32 s2, s0, s16
	s_add_i32 s1, s2, s1
	s_lshr_b32 s2, s3, 3
	s_load_dword s3, s[4:5], 0x44
	s_mul_i32 s2, s2, s16
	s_add_i32 s9, s1, s2
	s_mul_i32 s8, s0, s16
	s_add_u32 s0, s4, 56
	s_addc_u32 s1, s5, 0
	s_waitcnt lgkmcnt(0)
	s_and_b32 s2, s3, 0xffff
	s_mul_i32 s6, s6, s2
	v_add_u32_e32 v0, s6, v0
	v_ashrrev_i32_e32 v1, 31, v0
	v_cmp_gt_u64_e32 vcc, s[8:9], v[0:1]
	s_and_saveexec_b64 s[6:7], vcc
	s_cbranch_execz .LBB5_14
; %bb.4:
	s_load_dword s3, s[4:5], 0x30
	s_load_dwordx4 s[12:15], s[4:5], 0x20
	s_load_dword s29, s[0:1], 0x0
	s_load_dwordx2 s[18:19], s[4:5], 0x0
	s_load_dwordx2 s[20:21], s[4:5], 0x18
	s_mov_b64 s[22:23], 0
	s_waitcnt lgkmcnt(0)
	s_bitcmp1_b32 s3, 0
	s_cselect_b64 s[0:1], -1, 0
	s_xor_b64 s[6:7], s[0:1], -1
	s_bitcmp1_b32 s3, 8
	s_cselect_b64 s[0:1], -1, 0
	s_abs_i32 s10, s16
	s_abs_i32 s28, s11
	v_cvt_f32_u32_e32 v1, s10
	v_cvt_f32_u32_e32 v2, s28
	s_mul_i32 s29, s29, s2
	s_sub_i32 s2, 0, s10
	v_rcp_iflag_f32_e32 v1, v1
	v_rcp_iflag_f32_e32 v2, v2
	s_mul_i32 s4, s13, s12
	s_ashr_i32 s5, s4, 31
	v_mul_f32_e32 v1, 0x4f7ffffe, v1
	v_cvt_u32_f32_e32 v1, v1
	v_mul_f32_e32 v2, 0x4f7ffffe, v2
	v_cvt_u32_f32_e32 v3, v2
	s_add_i32 s30, s13, -1
	v_mul_lo_u32 v2, s2, v1
	s_sub_i32 s2, 0, s28
	v_mul_lo_u32 v4, s2, v3
	s_add_i32 s12, s12, -1
	v_mul_hi_u32 v2, v1, v2
	s_ashr_i32 s31, s16, 31
	v_mul_hi_u32 v4, v3, v4
	s_ashr_i32 s33, s11, 31
	v_add_u32_e32 v2, v1, v2
	s_sub_i32 s34, 0, s16
	v_add_u32_e32 v3, v3, v4
	s_brev_b32 s35, -2
	s_mov_b32 s36, 0x2f800000
	s_mov_b32 s37, 0xcf800000
	s_lshl_b64 s[24:25], s[4:5], 2
	s_lshl_b64 s[26:27], s[16:17], 2
	s_branch .LBB5_6
.LBB5_5:                                ;   in Loop: Header=BB5_6 Depth=1
	v_lshlrev_b32_e32 v15, 3, v5
	v_min_i32_e32 v5, s12, v7
	v_mul_lo_u32 v7, v15, s4
	v_mul_lo_u32 v5, v5, s13
	v_min_i32_e32 v6, s30, v6
	v_mov_b32_e32 v16, s25
	v_add_u32_e32 v0, s29, v0
	v_add3_u32 v5, v5, v7, v6
	v_ashrrev_i32_e32 v6, 31, v5
	v_lshlrev_b64 v[5:6], 2, v[5:6]
	v_mov_b32_e32 v7, s21
	v_add_co_u32_e32 v5, vcc, s20, v5
	v_addc_co_u32_e32 v6, vcc, v7, v6, vcc
	v_add_co_u32_e32 v7, vcc, s24, v5
	v_addc_co_u32_e32 v8, vcc, v6, v16, vcc
	global_load_dword v17, v[5:6], off
	global_load_dword v18, v[7:8], off
	v_add_co_u32_e32 v5, vcc, s24, v7
	v_addc_co_u32_e32 v6, vcc, v8, v16, vcc
	v_add_co_u32_e32 v7, vcc, s24, v5
	v_addc_co_u32_e32 v8, vcc, v6, v16, vcc
	;; [unrolled: 2-line block ×5, first 2 shown]
	global_load_dword v19, v[5:6], off
	global_load_dword v20, v[7:8], off
	;; [unrolled: 1-line block ×5, first 2 shown]
	v_add_co_u32_e32 v5, vcc, s24, v13
	v_addc_co_u32_e32 v6, vcc, v14, v16, vcc
	global_load_dword v14, v[5:6], off
	v_mul_lo_u32 v5, v1, s11
	v_mul_lo_u32 v7, v15, s16
	v_mov_b32_e32 v6, s19
	v_mov_b32_e32 v16, s27
	v_ashrrev_i32_e32 v1, 31, v0
	v_add3_u32 v4, v5, v7, v4
	v_ashrrev_i32_e32 v5, 31, v4
	v_lshlrev_b64 v[4:5], 2, v[4:5]
	v_cmp_le_u64_e32 vcc, s[8:9], v[0:1]
	v_add_co_u32_e64 v4, s[2:3], s18, v4
	v_addc_co_u32_e64 v5, s[2:3], v6, v5, s[2:3]
	v_add_co_u32_e64 v6, s[2:3], s26, v4
	v_addc_co_u32_e64 v7, s[2:3], v5, v16, s[2:3]
	;; [unrolled: 2-line block ×4, first 2 shown]
	s_or_b64 s[22:23], vcc, s[22:23]
	s_waitcnt vmcnt(7)
	global_store_dword v[4:5], v17, off
	v_add_co_u32_e64 v4, s[2:3], s26, v10
	v_addc_co_u32_e64 v5, s[2:3], v11, v16, s[2:3]
	v_add_co_u32_e64 v12, s[2:3], s26, v4
	v_addc_co_u32_e64 v13, s[2:3], v5, v16, s[2:3]
	s_waitcnt vmcnt(7)
	global_store_dword v[6:7], v18, off
	v_add_co_u32_e64 v6, s[2:3], s26, v12
	v_addc_co_u32_e64 v7, s[2:3], v13, v16, s[2:3]
	s_waitcnt vmcnt(7)
	global_store_dword v[8:9], v19, off
	s_waitcnt vmcnt(7)
	global_store_dword v[10:11], v20, off
	;; [unrolled: 2-line block ×5, first 2 shown]
	v_add_co_u32_e64 v4, s[2:3], s26, v6
	v_addc_co_u32_e64 v5, s[2:3], v7, v16, s[2:3]
	s_waitcnt vmcnt(7)
	global_store_dword v[4:5], v14, off
	s_andn2_b64 exec, exec, s[22:23]
	s_cbranch_execz .LBB5_14
.LBB5_6:                                ; =>This Inner Loop Header: Depth=1
	v_sub_u32_e32 v1, 0, v0
	v_max_i32_e32 v6, v0, v1
	v_mul_hi_u32 v1, v6, v2
	v_ashrrev_i32_e32 v4, 31, v0
	v_xor_b32_e32 v7, s31, v4
	v_mul_lo_u32 v5, v1, s10
	v_add_u32_e32 v8, 1, v1
	v_sub_u32_e32 v5, v6, v5
	v_cmp_le_u32_e32 vcc, s10, v5
	v_cndmask_b32_e32 v1, v1, v8, vcc
	v_subrev_u32_e32 v8, s10, v5
	v_cndmask_b32_e32 v5, v5, v8, vcc
	v_add_u32_e32 v8, 1, v1
	v_cmp_le_u32_e32 vcc, s10, v5
	v_cndmask_b32_e32 v1, v1, v8, vcc
	v_xor_b32_e32 v1, v1, v7
	v_sub_u32_e32 v5, v1, v7
	v_mad_u64_u32 v[7:8], s[2:3], s34, v5, v[0:1]
	v_mul_lo_u32 v1, v5, s16
	s_mov_b64 s[2:3], -1
	v_ashrrev_i32_e32 v7, 31, v7
	v_sub_u32_e32 v1, v7, v1
	v_add_u32_e32 v1, v0, v1
	v_xor_b32_e32 v1, v1, v7
	v_mul_hi_u32 v8, v1, v3
	v_xor_b32_e32 v7, s33, v7
	v_mul_lo_u32 v9, v8, s28
	v_add_u32_e32 v10, 1, v8
	v_sub_u32_e32 v1, v1, v9
	v_cmp_le_u32_e32 vcc, s28, v1
	v_subrev_u32_e32 v9, s28, v1
	v_cndmask_b32_e32 v8, v8, v10, vcc
	v_cndmask_b32_e32 v1, v1, v9, vcc
	v_add_u32_e32 v9, 1, v8
	v_cmp_le_u32_e32 vcc, s28, v1
	v_cndmask_b32_e32 v1, v8, v9, vcc
	v_xor_b32_e32 v1, v1, v7
	v_sub_u32_e32 v1, v1, v7
	v_cvt_f32_i32_e32 v8, v1
	s_and_b64 vcc, exec, s[6:7]
                                        ; implicit-def: $vgpr7
	v_add_f32_e32 v9, 0.5, v8
	v_cndmask_b32_e64 v8, v8, v9, s[0:1]
	v_mul_f32_e32 v8, s14, v8
	s_cbranch_vccz .LBB5_8
; %bb.7:                                ;   in Loop: Header=BB5_6 Depth=1
	v_cvt_i32_f32_e32 v7, v8
	s_mov_b64 s[2:3], 0
.LBB5_8:                                ;   in Loop: Header=BB5_6 Depth=1
	s_andn2_b64 vcc, exec, s[2:3]
	s_cbranch_vccnz .LBB5_10
; %bb.9:                                ;   in Loop: Header=BB5_6 Depth=1
	v_trunc_f32_e32 v7, v8
	v_sub_f32_e32 v9, v8, v7
	v_cmp_ge_f32_e64 s[2:3], |v9|, 0.5
	v_cndmask_b32_e64 v9, 0, 1.0, s[2:3]
	v_bfi_b32 v8, s35, v9, v8
	v_add_f32_e32 v7, v7, v8
	v_trunc_f32_e32 v7, v7
	v_mul_f32_e64 v8, |v7|, s36
	v_floor_f32_e32 v8, v8
	v_fma_f32 v8, v8, s37, |v7|
	v_cvt_u32_f32_e32 v8, v8
	v_ashrrev_i32_e32 v7, 31, v7
	v_xor_b32_e32 v8, v8, v7
	v_sub_u32_e32 v7, v8, v7
.LBB5_10:                               ;   in Loop: Header=BB5_6 Depth=1
	v_mul_hi_u32 v8, v6, v3
	s_mov_b64 s[2:3], -1
	v_mul_lo_u32 v8, v8, s28
	v_sub_u32_e32 v6, v6, v8
	v_subrev_u32_e32 v8, s28, v6
	v_cmp_le_u32_e32 vcc, s28, v6
	v_cndmask_b32_e32 v6, v6, v8, vcc
	v_subrev_u32_e32 v8, s28, v6
	v_cmp_le_u32_e32 vcc, s28, v6
	v_cndmask_b32_e32 v6, v6, v8, vcc
	v_xor_b32_e32 v6, v6, v4
	v_sub_u32_e32 v4, v6, v4
	v_cvt_f32_i32_e32 v8, v4
	s_and_b64 vcc, exec, s[6:7]
                                        ; implicit-def: $vgpr6
	v_add_f32_e32 v9, 0.5, v8
	v_cndmask_b32_e64 v8, v8, v9, s[0:1]
	v_mul_f32_e32 v8, s15, v8
	s_cbranch_vccz .LBB5_12
; %bb.11:                               ;   in Loop: Header=BB5_6 Depth=1
	v_cvt_i32_f32_e32 v6, v8
	s_mov_b64 s[2:3], 0
.LBB5_12:                               ;   in Loop: Header=BB5_6 Depth=1
	s_andn2_b64 vcc, exec, s[2:3]
	s_cbranch_vccnz .LBB5_5
; %bb.13:                               ;   in Loop: Header=BB5_6 Depth=1
	v_trunc_f32_e32 v6, v8
	v_sub_f32_e32 v9, v8, v6
	v_cmp_ge_f32_e64 s[2:3], |v9|, 0.5
	v_cndmask_b32_e64 v9, 0, 1.0, s[2:3]
	v_bfi_b32 v8, s35, v9, v8
	v_add_f32_e32 v6, v6, v8
	v_trunc_f32_e32 v6, v6
	v_mul_f32_e64 v8, |v6|, s36
	v_floor_f32_e32 v8, v8
	v_fma_f32 v8, v8, s37, |v6|
	v_cvt_u32_f32_e32 v8, v8
	v_ashrrev_i32_e32 v6, 31, v6
	v_xor_b32_e32 v8, v8, v6
	v_sub_u32_e32 v6, v8, v6
	s_branch .LBB5_5
.LBB5_14:
	s_endpgm
.LBB5_15:
                                        ; implicit-def: $sgpr2_sgpr3
	s_branch .LBB5_2
	.section	.rodata,"a",@progbits
	.p2align	6, 0x0
	.amdhsa_kernel _Z6resizeIjLm8EEvPT_miiPKS0_iiffbb
		.amdhsa_group_segment_fixed_size 0
		.amdhsa_private_segment_fixed_size 0
		.amdhsa_kernarg_size 312
		.amdhsa_user_sgpr_count 6
		.amdhsa_user_sgpr_private_segment_buffer 1
		.amdhsa_user_sgpr_dispatch_ptr 0
		.amdhsa_user_sgpr_queue_ptr 0
		.amdhsa_user_sgpr_kernarg_segment_ptr 1
		.amdhsa_user_sgpr_dispatch_id 0
		.amdhsa_user_sgpr_flat_scratch_init 0
		.amdhsa_user_sgpr_private_segment_size 0
		.amdhsa_uses_dynamic_stack 0
		.amdhsa_system_sgpr_private_segment_wavefront_offset 0
		.amdhsa_system_sgpr_workgroup_id_x 1
		.amdhsa_system_sgpr_workgroup_id_y 0
		.amdhsa_system_sgpr_workgroup_id_z 0
		.amdhsa_system_sgpr_workgroup_info 0
		.amdhsa_system_vgpr_workitem_id 0
		.amdhsa_next_free_vgpr 24
		.amdhsa_next_free_sgpr 38
		.amdhsa_reserve_vcc 1
		.amdhsa_reserve_flat_scratch 0
		.amdhsa_float_round_mode_32 0
		.amdhsa_float_round_mode_16_64 0
		.amdhsa_float_denorm_mode_32 3
		.amdhsa_float_denorm_mode_16_64 3
		.amdhsa_dx10_clamp 1
		.amdhsa_ieee_mode 1
		.amdhsa_fp16_overflow 0
		.amdhsa_exception_fp_ieee_invalid_op 0
		.amdhsa_exception_fp_denorm_src 0
		.amdhsa_exception_fp_ieee_div_zero 0
		.amdhsa_exception_fp_ieee_overflow 0
		.amdhsa_exception_fp_ieee_underflow 0
		.amdhsa_exception_fp_ieee_inexact 0
		.amdhsa_exception_int_div_zero 0
	.end_amdhsa_kernel
	.section	.text._Z6resizeIjLm8EEvPT_miiPKS0_iiffbb,"axG",@progbits,_Z6resizeIjLm8EEvPT_miiPKS0_iiffbb,comdat
.Lfunc_end5:
	.size	_Z6resizeIjLm8EEvPT_miiPKS0_iiffbb, .Lfunc_end5-_Z6resizeIjLm8EEvPT_miiPKS0_iiffbb
                                        ; -- End function
	.set _Z6resizeIjLm8EEvPT_miiPKS0_iiffbb.num_vgpr, 24
	.set _Z6resizeIjLm8EEvPT_miiPKS0_iiffbb.num_agpr, 0
	.set _Z6resizeIjLm8EEvPT_miiPKS0_iiffbb.numbered_sgpr, 38
	.set _Z6resizeIjLm8EEvPT_miiPKS0_iiffbb.num_named_barrier, 0
	.set _Z6resizeIjLm8EEvPT_miiPKS0_iiffbb.private_seg_size, 0
	.set _Z6resizeIjLm8EEvPT_miiPKS0_iiffbb.uses_vcc, 1
	.set _Z6resizeIjLm8EEvPT_miiPKS0_iiffbb.uses_flat_scratch, 0
	.set _Z6resizeIjLm8EEvPT_miiPKS0_iiffbb.has_dyn_sized_stack, 0
	.set _Z6resizeIjLm8EEvPT_miiPKS0_iiffbb.has_recursion, 0
	.set _Z6resizeIjLm8EEvPT_miiPKS0_iiffbb.has_indirect_call, 0
	.section	.AMDGPU.csdata,"",@progbits
; Kernel info:
; codeLenInByte = 1884
; TotalNumSgprs: 42
; NumVgprs: 24
; ScratchSize: 0
; MemoryBound: 0
; FloatMode: 240
; IeeeMode: 1
; LDSByteSize: 0 bytes/workgroup (compile time only)
; SGPRBlocks: 5
; VGPRBlocks: 5
; NumSGPRsForWavesPerEU: 42
; NumVGPRsForWavesPerEU: 24
; Occupancy: 10
; WaveLimiterHint : 0
; COMPUTE_PGM_RSRC2:SCRATCH_EN: 0
; COMPUTE_PGM_RSRC2:USER_SGPR: 6
; COMPUTE_PGM_RSRC2:TRAP_HANDLER: 0
; COMPUTE_PGM_RSRC2:TGID_X_EN: 1
; COMPUTE_PGM_RSRC2:TGID_Y_EN: 0
; COMPUTE_PGM_RSRC2:TGID_Z_EN: 0
; COMPUTE_PGM_RSRC2:TIDIG_COMP_CNT: 0
	.section	.AMDGPU.gpr_maximums,"",@progbits
	.set amdgpu.max_num_vgpr, 0
	.set amdgpu.max_num_agpr, 0
	.set amdgpu.max_num_sgpr, 0
	.section	.AMDGPU.csdata,"",@progbits
	.type	__hip_cuid_684500c79410b392,@object ; @__hip_cuid_684500c79410b392
	.section	.bss,"aw",@nobits
	.globl	__hip_cuid_684500c79410b392
__hip_cuid_684500c79410b392:
	.byte	0                               ; 0x0
	.size	__hip_cuid_684500c79410b392, 1

	.ident	"AMD clang version 22.0.0git (https://github.com/RadeonOpenCompute/llvm-project roc-7.2.4 26084 f58b06dce1f9c15707c5f808fd002e18c2accf7e)"
	.section	".note.GNU-stack","",@progbits
	.addrsig
	.addrsig_sym __hip_cuid_684500c79410b392
	.amdgpu_metadata
---
amdhsa.kernels:
  - .args:
      - .actual_access:  write_only
        .address_space:  global
        .offset:         0
        .size:           8
        .value_kind:     global_buffer
      - .offset:         8
        .size:           8
        .value_kind:     by_value
      - .offset:         16
        .size:           4
        .value_kind:     by_value
      - .offset:         20
        .size:           4
        .value_kind:     by_value
      - .actual_access:  read_only
        .address_space:  global
        .offset:         24
        .size:           8
        .value_kind:     global_buffer
      - .offset:         32
        .size:           4
        .value_kind:     by_value
      - .offset:         36
        .size:           4
        .value_kind:     by_value
      - .offset:         40
        .size:           4
        .value_kind:     by_value
      - .offset:         44
        .size:           4
        .value_kind:     by_value
      - .offset:         48
        .size:           1
        .value_kind:     by_value
      - .offset:         56
        .size:           4
        .value_kind:     hidden_block_count_x
      - .offset:         60
        .size:           4
        .value_kind:     hidden_block_count_y
      - .offset:         64
        .size:           4
        .value_kind:     hidden_block_count_z
      - .offset:         68
        .size:           2
        .value_kind:     hidden_group_size_x
      - .offset:         70
        .size:           2
        .value_kind:     hidden_group_size_y
      - .offset:         72
        .size:           2
        .value_kind:     hidden_group_size_z
      - .offset:         74
        .size:           2
        .value_kind:     hidden_remainder_x
      - .offset:         76
        .size:           2
        .value_kind:     hidden_remainder_y
      - .offset:         78
        .size:           2
        .value_kind:     hidden_remainder_z
      - .offset:         96
        .size:           8
        .value_kind:     hidden_global_offset_x
      - .offset:         104
        .size:           8
        .value_kind:     hidden_global_offset_y
      - .offset:         112
        .size:           8
        .value_kind:     hidden_global_offset_z
      - .offset:         120
        .size:           2
        .value_kind:     hidden_grid_dims
    .group_segment_fixed_size: 0
    .kernarg_segment_align: 8
    .kernarg_segment_size: 312
    .language:       OpenCL C
    .language_version:
      - 2
      - 0
    .max_flat_workgroup_size: 1024
    .name:           _Z15resize_bilinearIhLm8EEvPT_miiPKS0_iiffb
    .private_segment_fixed_size: 0
    .sgpr_count:     39
    .sgpr_spill_count: 0
    .symbol:         _Z15resize_bilinearIhLm8EEvPT_miiPKS0_iiffb.kd
    .uniform_work_group_size: 1
    .uses_dynamic_stack: false
    .vgpr_count:     23
    .vgpr_spill_count: 0
    .wavefront_size: 64
  - .args:
      - .actual_access:  write_only
        .address_space:  global
        .offset:         0
        .size:           8
        .value_kind:     global_buffer
      - .offset:         8
        .size:           8
        .value_kind:     by_value
      - .offset:         16
        .size:           4
        .value_kind:     by_value
      - .offset:         20
        .size:           4
        .value_kind:     by_value
      - .actual_access:  read_only
        .address_space:  global
        .offset:         24
        .size:           8
        .value_kind:     global_buffer
      - .offset:         32
        .size:           4
        .value_kind:     by_value
      - .offset:         36
        .size:           4
        .value_kind:     by_value
      - .offset:         40
        .size:           4
        .value_kind:     by_value
      - .offset:         44
        .size:           4
        .value_kind:     by_value
      - .offset:         48
        .size:           1
        .value_kind:     by_value
      - .offset:         49
        .size:           1
        .value_kind:     by_value
      - .offset:         56
        .size:           4
        .value_kind:     hidden_block_count_x
      - .offset:         60
        .size:           4
        .value_kind:     hidden_block_count_y
      - .offset:         64
        .size:           4
        .value_kind:     hidden_block_count_z
      - .offset:         68
        .size:           2
        .value_kind:     hidden_group_size_x
      - .offset:         70
        .size:           2
        .value_kind:     hidden_group_size_y
      - .offset:         72
        .size:           2
        .value_kind:     hidden_group_size_z
      - .offset:         74
        .size:           2
        .value_kind:     hidden_remainder_x
      - .offset:         76
        .size:           2
        .value_kind:     hidden_remainder_y
      - .offset:         78
        .size:           2
        .value_kind:     hidden_remainder_z
      - .offset:         96
        .size:           8
        .value_kind:     hidden_global_offset_x
      - .offset:         104
        .size:           8
        .value_kind:     hidden_global_offset_y
      - .offset:         112
        .size:           8
        .value_kind:     hidden_global_offset_z
      - .offset:         120
        .size:           2
        .value_kind:     hidden_grid_dims
    .group_segment_fixed_size: 0
    .kernarg_segment_align: 8
    .kernarg_segment_size: 312
    .language:       OpenCL C
    .language_version:
      - 2
      - 0
    .max_flat_workgroup_size: 1024
    .name:           _Z6resizeIhLm8EEvPT_miiPKS0_iiffbb
    .private_segment_fixed_size: 0
    .sgpr_count:     38
    .sgpr_spill_count: 0
    .symbol:         _Z6resizeIhLm8EEvPT_miiPKS0_iiffbb.kd
    .uniform_work_group_size: 1
    .uses_dynamic_stack: false
    .vgpr_count:     24
    .vgpr_spill_count: 0
    .wavefront_size: 64
  - .args:
      - .actual_access:  write_only
        .address_space:  global
        .offset:         0
        .size:           8
        .value_kind:     global_buffer
      - .offset:         8
        .size:           8
        .value_kind:     by_value
      - .offset:         16
        .size:           4
        .value_kind:     by_value
      - .offset:         20
        .size:           4
        .value_kind:     by_value
      - .actual_access:  read_only
        .address_space:  global
        .offset:         24
        .size:           8
        .value_kind:     global_buffer
      - .offset:         32
        .size:           4
        .value_kind:     by_value
      - .offset:         36
        .size:           4
        .value_kind:     by_value
      - .offset:         40
        .size:           4
        .value_kind:     by_value
      - .offset:         44
        .size:           4
        .value_kind:     by_value
      - .offset:         48
        .size:           1
        .value_kind:     by_value
      - .offset:         56
        .size:           4
        .value_kind:     hidden_block_count_x
      - .offset:         60
        .size:           4
        .value_kind:     hidden_block_count_y
      - .offset:         64
        .size:           4
        .value_kind:     hidden_block_count_z
      - .offset:         68
        .size:           2
        .value_kind:     hidden_group_size_x
      - .offset:         70
        .size:           2
        .value_kind:     hidden_group_size_y
      - .offset:         72
        .size:           2
        .value_kind:     hidden_group_size_z
      - .offset:         74
        .size:           2
        .value_kind:     hidden_remainder_x
      - .offset:         76
        .size:           2
        .value_kind:     hidden_remainder_y
      - .offset:         78
        .size:           2
        .value_kind:     hidden_remainder_z
      - .offset:         96
        .size:           8
        .value_kind:     hidden_global_offset_x
      - .offset:         104
        .size:           8
        .value_kind:     hidden_global_offset_y
      - .offset:         112
        .size:           8
        .value_kind:     hidden_global_offset_z
      - .offset:         120
        .size:           2
        .value_kind:     hidden_grid_dims
    .group_segment_fixed_size: 0
    .kernarg_segment_align: 8
    .kernarg_segment_size: 312
    .language:       OpenCL C
    .language_version:
      - 2
      - 0
    .max_flat_workgroup_size: 1024
    .name:           _Z15resize_bilinearItLm8EEvPT_miiPKS0_iiffb
    .private_segment_fixed_size: 0
    .sgpr_count:     42
    .sgpr_spill_count: 0
    .symbol:         _Z15resize_bilinearItLm8EEvPT_miiPKS0_iiffb.kd
    .uniform_work_group_size: 1
    .uses_dynamic_stack: false
    .vgpr_count:     23
    .vgpr_spill_count: 0
    .wavefront_size: 64
  - .args:
      - .actual_access:  write_only
        .address_space:  global
        .offset:         0
        .size:           8
        .value_kind:     global_buffer
      - .offset:         8
        .size:           8
        .value_kind:     by_value
      - .offset:         16
        .size:           4
        .value_kind:     by_value
      - .offset:         20
        .size:           4
        .value_kind:     by_value
      - .actual_access:  read_only
        .address_space:  global
        .offset:         24
        .size:           8
        .value_kind:     global_buffer
      - .offset:         32
        .size:           4
        .value_kind:     by_value
      - .offset:         36
        .size:           4
        .value_kind:     by_value
      - .offset:         40
        .size:           4
        .value_kind:     by_value
      - .offset:         44
        .size:           4
        .value_kind:     by_value
      - .offset:         48
        .size:           1
        .value_kind:     by_value
      - .offset:         49
        .size:           1
        .value_kind:     by_value
      - .offset:         56
        .size:           4
        .value_kind:     hidden_block_count_x
      - .offset:         60
        .size:           4
        .value_kind:     hidden_block_count_y
      - .offset:         64
        .size:           4
        .value_kind:     hidden_block_count_z
      - .offset:         68
        .size:           2
        .value_kind:     hidden_group_size_x
      - .offset:         70
        .size:           2
        .value_kind:     hidden_group_size_y
      - .offset:         72
        .size:           2
        .value_kind:     hidden_group_size_z
      - .offset:         74
        .size:           2
        .value_kind:     hidden_remainder_x
      - .offset:         76
        .size:           2
        .value_kind:     hidden_remainder_y
      - .offset:         78
        .size:           2
        .value_kind:     hidden_remainder_z
      - .offset:         96
        .size:           8
        .value_kind:     hidden_global_offset_x
      - .offset:         104
        .size:           8
        .value_kind:     hidden_global_offset_y
      - .offset:         112
        .size:           8
        .value_kind:     hidden_global_offset_z
      - .offset:         120
        .size:           2
        .value_kind:     hidden_grid_dims
    .group_segment_fixed_size: 0
    .kernarg_segment_align: 8
    .kernarg_segment_size: 312
    .language:       OpenCL C
    .language_version:
      - 2
      - 0
    .max_flat_workgroup_size: 1024
    .name:           _Z6resizeItLm8EEvPT_miiPKS0_iiffbb
    .private_segment_fixed_size: 0
    .sgpr_count:     42
    .sgpr_spill_count: 0
    .symbol:         _Z6resizeItLm8EEvPT_miiPKS0_iiffbb.kd
    .uniform_work_group_size: 1
    .uses_dynamic_stack: false
    .vgpr_count:     24
    .vgpr_spill_count: 0
    .wavefront_size: 64
  - .args:
      - .actual_access:  write_only
        .address_space:  global
        .offset:         0
        .size:           8
        .value_kind:     global_buffer
      - .offset:         8
        .size:           8
        .value_kind:     by_value
      - .offset:         16
        .size:           4
        .value_kind:     by_value
      - .offset:         20
        .size:           4
        .value_kind:     by_value
      - .actual_access:  read_only
        .address_space:  global
        .offset:         24
        .size:           8
        .value_kind:     global_buffer
      - .offset:         32
        .size:           4
        .value_kind:     by_value
      - .offset:         36
        .size:           4
        .value_kind:     by_value
      - .offset:         40
        .size:           4
        .value_kind:     by_value
      - .offset:         44
        .size:           4
        .value_kind:     by_value
      - .offset:         48
        .size:           1
        .value_kind:     by_value
      - .offset:         56
        .size:           4
        .value_kind:     hidden_block_count_x
      - .offset:         60
        .size:           4
        .value_kind:     hidden_block_count_y
      - .offset:         64
        .size:           4
        .value_kind:     hidden_block_count_z
      - .offset:         68
        .size:           2
        .value_kind:     hidden_group_size_x
      - .offset:         70
        .size:           2
        .value_kind:     hidden_group_size_y
      - .offset:         72
        .size:           2
        .value_kind:     hidden_group_size_z
      - .offset:         74
        .size:           2
        .value_kind:     hidden_remainder_x
      - .offset:         76
        .size:           2
        .value_kind:     hidden_remainder_y
      - .offset:         78
        .size:           2
        .value_kind:     hidden_remainder_z
      - .offset:         96
        .size:           8
        .value_kind:     hidden_global_offset_x
      - .offset:         104
        .size:           8
        .value_kind:     hidden_global_offset_y
      - .offset:         112
        .size:           8
        .value_kind:     hidden_global_offset_z
      - .offset:         120
        .size:           2
        .value_kind:     hidden_grid_dims
    .group_segment_fixed_size: 0
    .kernarg_segment_align: 8
    .kernarg_segment_size: 312
    .language:       OpenCL C
    .language_version:
      - 2
      - 0
    .max_flat_workgroup_size: 1024
    .name:           _Z15resize_bilinearIjLm8EEvPT_miiPKS0_iiffb
    .private_segment_fixed_size: 0
    .sgpr_count:     44
    .sgpr_spill_count: 0
    .symbol:         _Z15resize_bilinearIjLm8EEvPT_miiPKS0_iiffb.kd
    .uniform_work_group_size: 1
    .uses_dynamic_stack: false
    .vgpr_count:     24
    .vgpr_spill_count: 0
    .wavefront_size: 64
  - .args:
      - .actual_access:  write_only
        .address_space:  global
        .offset:         0
        .size:           8
        .value_kind:     global_buffer
      - .offset:         8
        .size:           8
        .value_kind:     by_value
      - .offset:         16
        .size:           4
        .value_kind:     by_value
      - .offset:         20
        .size:           4
        .value_kind:     by_value
      - .actual_access:  read_only
        .address_space:  global
        .offset:         24
        .size:           8
        .value_kind:     global_buffer
      - .offset:         32
        .size:           4
        .value_kind:     by_value
      - .offset:         36
        .size:           4
        .value_kind:     by_value
      - .offset:         40
        .size:           4
        .value_kind:     by_value
      - .offset:         44
        .size:           4
        .value_kind:     by_value
      - .offset:         48
        .size:           1
        .value_kind:     by_value
      - .offset:         49
        .size:           1
        .value_kind:     by_value
      - .offset:         56
        .size:           4
        .value_kind:     hidden_block_count_x
      - .offset:         60
        .size:           4
        .value_kind:     hidden_block_count_y
      - .offset:         64
        .size:           4
        .value_kind:     hidden_block_count_z
      - .offset:         68
        .size:           2
        .value_kind:     hidden_group_size_x
      - .offset:         70
        .size:           2
        .value_kind:     hidden_group_size_y
      - .offset:         72
        .size:           2
        .value_kind:     hidden_group_size_z
      - .offset:         74
        .size:           2
        .value_kind:     hidden_remainder_x
      - .offset:         76
        .size:           2
        .value_kind:     hidden_remainder_y
      - .offset:         78
        .size:           2
        .value_kind:     hidden_remainder_z
      - .offset:         96
        .size:           8
        .value_kind:     hidden_global_offset_x
      - .offset:         104
        .size:           8
        .value_kind:     hidden_global_offset_y
      - .offset:         112
        .size:           8
        .value_kind:     hidden_global_offset_z
      - .offset:         120
        .size:           2
        .value_kind:     hidden_grid_dims
    .group_segment_fixed_size: 0
    .kernarg_segment_align: 8
    .kernarg_segment_size: 312
    .language:       OpenCL C
    .language_version:
      - 2
      - 0
    .max_flat_workgroup_size: 1024
    .name:           _Z6resizeIjLm8EEvPT_miiPKS0_iiffbb
    .private_segment_fixed_size: 0
    .sgpr_count:     42
    .sgpr_spill_count: 0
    .symbol:         _Z6resizeIjLm8EEvPT_miiPKS0_iiffbb.kd
    .uniform_work_group_size: 1
    .uses_dynamic_stack: false
    .vgpr_count:     24
    .vgpr_spill_count: 0
    .wavefront_size: 64
amdhsa.target:   amdgcn-amd-amdhsa--gfx906
amdhsa.version:
  - 1
  - 2
...

	.end_amdgpu_metadata
